;; amdgpu-corpus repo=ROCm/aiter kind=harvested arch=n/a opt=n/a

/root/src/amdgpu-assembly/repos/ROCm__aiter/hsa/gfx950/mla/mla_a16w16_qh16_qseqlen4_gqaratio16_lse_ps.co:	file format elf64-amdgpu

Disassembly of section .text:

0000000000002400 <_ZN5aiter42mla_a16w16_qh16_qseqlen4_gqaratio16_lse_psE>:
	s_and_b32 s1, s1, 0xffff                                   // 000000002400: 8601FF01 0000FFFF
	s_load_dwordx2 s[28:29], s[0:1], 0xe0                      // 000000002408: C0060700 000000E0
	v_lshrrev_b32_e32 v1, 10, v0                               // 000000002410: 2002008A
	v_lshrrev_b32_e32 v2, 10, v1                               // 000000002414: 2004028A
	v_and_b32_e32 v2, 0x3ff, v2                                // 000000002418: 260404FF 000003FF
	v_and_b32_e32 v1, 0x3ff, v1                                // 000000002420: 260202FF 000003FF
	v_and_b32_e32 v0, 0x3ff, v0                                // 000000002428: 260000FF 000003FF
	v_lshrrev_b32_e32 v3, 6, v0                                // 000000002430: 20060086
	v_and_b32_e32 v0, 63, v0                                   // 000000002434: 260000BF
	s_mov_b32 s2, s2                                           // 000000002438: BE820002
	s_mov_b32 s3, s3                                           // 00000000243C: BE830003
	s_mov_b32 s4, s4                                           // 000000002440: BE840004
	v_readfirstlane_b32 s7, v3                                 // 000000002444: 7E0E0503
	s_waitcnt lgkmcnt(0)                                       // 000000002448: BF8CC07F
	s_and_b32 s29, s29, 0xffff                                 // 00000000244C: 861DFF1D 0000FFFF
	s_load_dwordx2 s[32:33], s[28:29], 0x0                     // 000000002454: C006080E 00000000
	s_load_dwordx2 s[30:31], s[28:29], 0x8                     // 00000000245C: C006078E 00000008
	s_waitcnt lgkmcnt(0)                                       // 000000002464: BF8CC07F
	s_mul_i32 s56, s2, 4                                       // 000000002468: 92388402
	s_and_b32 s33, s33, 0xffff                                 // 00000000246C: 8621FF21 0000FFFF
	s_add_u32 s32, s56, s32                                    // 000000002474: 80202038
	s_addc_u32 s33, 0, s33                                     // 000000002478: 82212180
	s_load_dword s85, s[32:33], 0x0                            // 00000000247C: C0021550 00000000
	s_load_dword s86, s[32:33], 0x4                            // 000000002484: C0021590 00000004
	s_and_b32 s31, s31, 0xffff                                 // 00000000248C: 861FFF1F 0000FFFF
	s_waitcnt lgkmcnt(0)                                       // 000000002494: BF8CC07F
	s_cmp_eq_i32 s85, s86                                      // 000000002498: BF005655
	s_cbranch_scc1 label_7C94                                  // 00000000249C: BF851E7B
	s_mul_i32 s56, s85, 32                                     // 0000000024A0: 9238A055

00000000000024a4 <label_00A4>:
	s_waitcnt vmcnt(0) expcnt(0) lgkmcnt(0)                    // 0000000024A4: BF8C0000
	s_barrier                                                  // 0000000024A8: BF8A0000
	s_add_u32 s30, s56, s30                                    // 0000000024AC: 801E1E38
	s_addc_u32 s31, 0, s31                                     // 0000000024B0: 821F1F80
	s_load_dword s87, s[30:31], 0x4                            // 0000000024B4: C00215CF 00000004
	s_load_dword s78, s[30:31], 0x8                            // 0000000024BC: C002138F 00000008
	s_load_dword s79, s[30:31], 0xc                            // 0000000024C4: C00213CF 0000000C
	s_load_dword s46, s[30:31], 0x10                           // 0000000024CC: C0020B8F 00000010
	s_load_dword s47, s[30:31], 0x14                           // 0000000024D4: C0020BCF 00000014
	s_load_dword s62, s[30:31], 0x18                           // 0000000024DC: C0020F8F 00000018
	s_load_dwordx2 s[8:9], s[0:1], 0x0                         // 0000000024E4: C0060200 00000000
	s_load_dwordx2 s[12:13], s[0:1], 0x10                      // 0000000024EC: C0060300 00000010
	s_load_dwordx2 s[16:17], s[0:1], 0x20                      // 0000000024F4: C0060400 00000020
	s_load_dwordx2 s[20:21], s[0:1], 0x30                      // 0000000024FC: C0060500 00000030
	s_load_dwordx2 s[24:25], s[0:1], 0x50                      // 000000002504: C0060600 00000050
	s_load_dword s64, s[0:1], 0x70                             // 00000000250C: C0021000 00000070
	s_load_dword s65, s[0:1], 0x80                             // 000000002514: C0021040 00000080
	s_load_dword s66, s[0:1], 0xa0                             // 00000000251C: C0021080 000000A0
	s_load_dword s68, s[0:1], 0xb0                             // 000000002524: C0021100 000000B0
	s_load_dword s69, s[0:1], 0xc0                             // 00000000252C: C0021140 000000C0
	s_load_dwordx2 s[88:89], s[0:1], 0xf0                      // 000000002534: C0061600 000000F0
	s_load_dwordx2 s[92:93], s[0:1], 0x130                     // 00000000253C: C0061700 00000130
	s_waitcnt lgkmcnt(0)                                       // 000000002544: BF8CC07F
	s_min_u32 s76, 16, s65                                     // 000000002548: 83CC4190
	s_sub_u32 s80, s79, s78                                    // 00000000254C: 80D04E4F
	s_mul_i32 s75, 0x800, s65                                  // 000000002550: 924B41FF 00000800
	s_mul_i32 s74, 0x480, s65                                  // 000000002558: 924A41FF 00000480
	s_mul_i32 s56, 4, s65                                      // 000000002560: 92384184
	s_mov_b32 s10, s75                                         // 000000002564: BE8A004B
	s_mov_b32 s90, -16                                         // 000000002568: BEDA00D0
	s_mov_b32 s18, s74                                         // 00000000256C: BE92004A
	s_mov_b32 s14, s56                                         // 000000002570: BE8E0038
	s_mov_b32 s94, s56                                         // 000000002574: BEDE0038
	s_mov_b32 s22, -16                                         // 000000002578: BE9600D0
	s_mov_b32 s26, -16                                         // 00000000257C: BE9A00D0
	s_mov_b32 s11, 0x20000                                     // 000000002580: BE8B00FF 00020000
	s_mov_b32 s91, 0x20000                                     // 000000002588: BEDB00FF 00020000
	s_mov_b32 s19, 0x20000                                     // 000000002590: BE9300FF 00020000
	s_mov_b32 s15, 0x20000                                     // 000000002598: BE8F00FF 00020000
	s_mov_b32 s95, 0x20000                                     // 0000000025A0: BEDF00FF 00020000
	s_mov_b32 s23, 0x20000                                     // 0000000025A8: BE9700FF 00020000
	s_mov_b32 s27, 0x20000                                     // 0000000025B0: BE9B00FF 00020000
	s_and_b32 s9, s9, 0xffff                                   // 0000000025B8: 8609FF09 0000FFFF
	s_and_b32 s89, s89, 0xffff                                 // 0000000025C0: 8659FF59 0000FFFF
	s_and_b32 s17, s17, 0xffff                                 // 0000000025C8: 8611FF11 0000FFFF
	s_and_b32 s13, s13, 0xffff                                 // 0000000025D0: 860DFF0D 0000FFFF
	s_and_b32 s93, s93, 0xffff                                 // 0000000025D8: 865DFF5D 0000FFFF
	s_and_b32 s21, s21, 0xffff                                 // 0000000025E0: 8615FF15 0000FFFF
	s_and_b32 s25, s25, 0xffff                                 // 0000000025E8: 8619FF19 0000FFFF
	s_or_b32 s9, s9, 0x40000                                   // 0000000025F0: 8709FF09 00040000
	s_or_b32 s89, s89, 0x40000                                 // 0000000025F8: 8759FF59 00040000
	s_or_b32 s17, s17, 0x40000                                 // 000000002600: 8711FF11 00040000
	s_or_b32 s13, s13, 0x40000                                 // 000000002608: 870DFF0D 00040000
	s_or_b32 s93, s93, 0x40000                                 // 000000002610: 875DFF5D 00040000
	s_or_b32 s21, s21, 0x40000                                 // 000000002618: 8715FF15 00040000
	s_or_b32 s25, s25, 0x40000                                 // 000000002620: 8719FF19 00040000
	s_mov_b32 s81, 4                                           // 000000002628: BED10084
	s_mov_b32 s67, 1                                           // 00000000262C: BEC30081
	s_waitcnt lgkmcnt(0)                                       // 000000002630: BF8CC07F
	s_mov_b32 s69, 0                                           // 000000002634: BEC50080
	s_lshr_b32 s44, 32, s69                                    // 000000002638: 8F2C45A0
	s_mul_i32 s73, s44, 4                                      // 00000000263C: 9249842C
	s_mul_i32 s73, s73, s67                                    // 000000002640: 92494349
	s_mul_i32 s45, s4, s44                                     // 000000002644: 922D2C04
	s_sub_u32 s50, s47, s46                                    // 000000002648: 80B22E2F
	s_sub_u32 s82, s50, s81                                    // 00000000264C: 80D25132
	s_mov_b32 s56, s62                                         // 000000002650: BEB8003E
	s_add_u32 s82, s56, s82                                    // 000000002654: 80525238
	s_mov_b32 s83, 31                                          // 000000002658: BED3009F
	s_add_u32 s83, s83, s45                                    // 00000000265C: 80532D53
	s_mul_i32 s84, s67, 32                                     // 000000002660: 9254A043
	s_cmp_le_u32 s50, s45                                      // 000000002664: BF0B2D32
	s_cbranch_scc1 label_7C94                                  // 000000002668: BF851E08
	s_mul_i32 s56, s50, 4                                      // 00000000266C: 92388432
	s_mov_b32 s26, s56                                         // 000000002670: BE9A0038
	s_mul_i32 s56, s46, 4                                      // 000000002674: 9238842E
	s_add_u32 s24, s56, s24                                    // 000000002678: 80181838
	s_addc_u32 s25, 0, s25                                     // 00000000267C: 82191980
	s_mov_b32 s70, 0                                           // 000000002680: BEC60080
	s_sub_u32 s71, s50, s45                                    // 000000002684: 80C72D32
	s_mul_i32 s37, s67, s44                                    // 000000002688: 92252C43
	s_mov_b32 s36, s71                                         // 00000000268C: BEA40047
	v_cvt_f32_u32_e32 v22, s37                                 // 000000002690: 7E2C0C25
	s_sub_i32 s56, 0, s37                                      // 000000002694: 81B82580
	v_rcp_iflag_f32_e32 v22, v22                               // 000000002698: 7E2C4716
	s_nop 0                                                    // 00000000269C: BF800000
	v_mul_f32_e32 v22, 0x4f7ffffe, v22                         // 0000000026A0: 0A2C2CFF 4F7FFFFE
	v_cvt_u32_f32_e32 v22, v22                                 // 0000000026A8: 7E2C0F16
	v_mul_lo_u32 v23, s56, v22                                 // 0000000026AC: D2850017 00022C38
	v_mul_hi_u32 v23, v22, v23                                 // 0000000026B4: D2860017 00022F16
	v_add_u32_e32 v22, v22, v23                                // 0000000026BC: 682C2F16
	v_mul_hi_u32 v22, s36, v22                                 // 0000000026C0: D2860016 00022C24
	v_mul_lo_u32 v23, v22, s37                                 // 0000000026C8: D2850017 00004B16
	v_sub_u32_e32 v25, s36, v23                                // 0000000026D0: 6A322E24
	v_add_u32_e32 v24, 1, v22                                  // 0000000026D4: 68302C81
	v_cmp_le_u32_e32 vcc, s37, v25                             // 0000000026D8: 7D963225
	v_subrev_u32_e32 v23, s37, v25                             // 0000000026DC: 6C2E3225
	s_nop 0                                                    // 0000000026E0: BF800000
	v_cndmask_b32_e32 v22, v22, v24, vcc                       // 0000000026E4: 002C3116
	v_cndmask_b32_e32 v25, v25, v23, vcc                       // 0000000026E8: 00322F19
	v_add_u32_e32 v23, 1, v22                                  // 0000000026EC: 682E2C81
	v_cmp_le_u32_e32 vcc, s37, v25                             // 0000000026F0: 7D963225
	s_nop 1                                                    // 0000000026F4: BF800001
	v_cndmask_b32_e32 v25, v22, v23, vcc                       // 0000000026F8: 00322F16
	s_nop 3                                                    // 0000000026FC: BF800003
	v_readfirstlane_b32 s38, v25                               // 000000002700: 7E4C0519
	s_nop 3                                                    // 000000002704: BF800003
	s_mov_b32 s71, s38                                         // 000000002708: BEC70026
	s_mul_i32 s56, s71, s37                                    // 00000000270C: 92382547
	s_sub_u32 s56, s36, s56                                    // 000000002710: 80B83824
	s_mov_b32 s57, 0                                           // 000000002714: BEB90080
	s_cmp_lt_u32 s56, s44                                      // 000000002718: BF0A2C38
	s_cselect_b32 s57, s57, 1                                  // 00000000271C: 85398139
	s_add_u32 s71, s57, s71                                    // 000000002720: 80474739
	s_cmpk_eq_u32 s57, 0x1                                     // 000000002724: B4390001
	s_cselect_b32 s49, 0, s56                                  // 000000002728: 85313880
	s_mov_b32 s48, s49                                         // 00000000272C: BEB00031
	v_lshrrev_b32_e32 v22, 2, v0                               // 000000002730: 202C0082
	s_lshr_b32 s57, s7, 1                                      // 000000002734: 8F398107
	s_mul_i32 s56, 16, s57                                     // 000000002738: 92383990
	v_add_u32_e64 v21, v22, s56                                // 00000000273C: D1340015 00007116
	v_add_u32_e32 v21, s45, v21                                // 000000002744: 682A2A2D
	v_lshlrev_b32_e32 v21, 2, v21                              // 000000002748: 242A2A82
	buffer_load_dword v17, v21, s[24:27], 0 offen              // 00000000274C: E0501000 80061115
	v_add_u32_e32 v21, s73, v21                                // 000000002754: 682A2A49
	buffer_load_dword v18, v21, s[24:27], 0 offen              // 000000002758: E0501000 80061215
	v_add_u32_e32 v21, s73, v21                                // 000000002760: 682A2A49
	s_mul_i32 s56, 0x480, 16                                   // 000000002764: 923890FF 00000480
	s_mul_i32 s56, s78, s56                                    // 00000000276C: 9238384E
	s_add_u32 s16, s56, s16                                    // 000000002770: 80101038
	s_addc_u32 s17, 0, s17                                     // 000000002774: 82111180
	s_mul_i32 s56, s7, 0x400                                   // 000000002778: 9238FF07 00000400
	s_add_u32 m0, 0, s56                                       // 000000002780: 807C3880
	v_and_b32_e32 v22, 3, v0                                   // 000000002784: 262C0083
	v_mov_b32_e32 v23, 0                                       // 000000002788: 7E2E0280
	s_mov_b32 s56, 0                                           // 00000000278C: BEB80080
	s_mov_b32 s57, -1                                          // 000000002790: BEB900C1
	v_cndmask_b32_e64 v24, v23, v22, s[56:57]                  // 000000002794: D1000018 00E22D17
	s_nop 2                                                    // 00000000279C: BF800002
	v_mov_b32_dpp v24, v24 quad_perm:[2,3,0,1] row_mask:0xf bank_mask:0xf// 0000000027A0: 7E3002FA FF004E18
	v_cndmask_b32_e64 v25, v22, v24, s[56:57]                  // 0000000027A8: D1000019 00E23116
	v_lshlrev_b32_e32 v25, 4, v25                              // 0000000027B0: 24323284
	v_mov_b32_e32 v1, v25                                      // 0000000027B4: 7E020319
	s_and_b32 s56, 1, s7                                       // 0000000027B8: 86380781
	s_mul_i32 s56, s56, 0x240                                  // 0000000027BC: 9238FF38 00000240
	v_add_u32_e64 v1, v1, s56                                  // 0000000027C4: D1340001 00007101
	v_lshrrev_b32_e32 v22, 2, v0                               // 0000000027CC: 202C0082
	s_mov_b32 s56, 0x480                                       // 0000000027D0: BEB800FF 00000480
	v_mul_i32_i24_e64 v22, v22, s56                            // 0000000027D8: D1060016 00007116
	s_mul_i32 s56, s7, 64                                      // 0000000027E0: 9238C007
	v_add_u32_e32 v23, v22, v25                                // 0000000027E4: 682E3316
	v_add_u32_e64 v23, v23, s56                                // 0000000027E8: D1340017 00007117
	buffer_load_dwordx4 v23, s[16:19], 0 offen lds             // 0000000027F0: E05D1000 80040017
	s_add_u32 m0, m0, 0x1000                                   // 0000000027F8: 807CFF7C 00001000
	v_add_u32_e32 v23, 0x100, v23                              // 000000002800: 682E2EFF 00000100
	buffer_load_dwordx4 v23, s[16:19], 0 offen lds             // 000000002808: E05D1000 80040017
	s_add_u32 m0, m0, 0x1000                                   // 000000002810: 807CFF7C 00001000
	v_add_u32_e32 v23, 0x100, v23                              // 000000002818: 682E2EFF 00000100
	buffer_load_dwordx4 v23, s[16:19], 0 offen lds             // 000000002820: E05D1000 80040017
	s_add_u32 m0, m0, 0x1000                                   // 000000002828: 807CFF7C 00001000
	;; [unrolled: 3-line block ×4, first 2 shown]
	v_add_u32_e32 v23, 0x100, v23                              // 000000002860: 682E2EFF 00000100
	v_add_u32_e32 v23, 0x4300, v23                             // 000000002868: 682E2EFF 00004300
	buffer_load_dwordx4 v23, s[16:19], 0 offen lds             // 000000002870: E05D1000 80040017
	s_add_u32 m0, m0, 0x1000                                   // 000000002878: 807CFF7C 00001000
	v_add_u32_e32 v23, 0x100, v23                              // 000000002880: 682E2EFF 00000100
	buffer_load_dwordx4 v23, s[16:19], 0 offen lds             // 000000002888: E05D1000 80040017
	s_add_u32 m0, m0, 0x1000                                   // 000000002890: 807CFF7C 00001000
	v_add_u32_e32 v23, 0x100, v23                              // 000000002898: 682E2EFF 00000100
	buffer_load_dwordx4 v23, s[16:19], 0 offen lds             // 0000000028A0: E05D1000 80040017
	s_add_u32 m0, m0, 0x1000                                   // 0000000028A8: 807CFF7C 00001000
	v_add_u32_e32 v23, 0x100, v23                              // 0000000028B0: 682E2EFF 00000100
	buffer_load_dwordx4 v23, s[16:19], 0 offen lds             // 0000000028B8: E05D1000 80040017
	s_add_u32 m0, m0, 0x1000                                   // 0000000028C0: 807CFF7C 00001000
	v_add_u32_e32 v23, 0x100, v23                              // 0000000028C8: 682E2EFF 00000100
	buffer_load_dwordx4 v23, s[16:19], 0 offen lds             // 0000000028D0: E05D1000 80040017
	s_add_u32 m0, m0, 0x1000                                   // 0000000028D8: 807CFF7C 00001000
	v_add_u32_e32 v23, 0x100, v23                              // 0000000028E0: 682E2EFF 00000100
	v_add_u32_e32 v23, 0x4300, v23                             // 0000000028E8: 682E2EFF 00004300
	buffer_load_dwordx4 v23, s[16:19], 0 offen lds             // 0000000028F0: E05D1000 80040017
	s_add_u32 m0, m0, 0x1000                                   // 0000000028F8: 807CFF7C 00001000
	v_add_u32_e32 v23, 0x100, v23                              // 000000002900: 682E2EFF 00000100
	buffer_load_dwordx4 v23, s[16:19], 0 offen lds             // 000000002908: E05D1000 80040017
	s_add_u32 m0, m0, 0x1000                                   // 000000002910: 807CFF7C 00001000
	v_add_u32_e32 v23, 0x100, v23                              // 000000002918: 682E2EFF 00000100
	buffer_load_dwordx4 v23, s[16:19], 0 offen lds             // 000000002920: E05D1000 80040017
	s_add_u32 m0, m0, 0x1000                                   // 000000002928: 807CFF7C 00001000
	;; [unrolled: 3-line block ×4, first 2 shown]
	v_add_u32_e32 v23, 0x100, v23                              // 000000002960: 682E2EFF 00000100
	v_add_u32_e32 v23, 0x4300, v23                             // 000000002968: 682E2EFF 00004300
	buffer_load_dwordx4 v23, s[16:19], 0 offen lds             // 000000002970: E05D1000 80040017
	s_add_u32 m0, m0, 0x1000                                   // 000000002978: 807CFF7C 00001000
	v_add_u32_e32 v23, 0x100, v23                              // 000000002980: 682E2EFF 00000100
	buffer_load_dwordx4 v23, s[16:19], 0 offen lds             // 000000002988: E05D1000 80040017
	s_add_u32 m0, m0, 0x1000                                   // 000000002990: 807CFF7C 00001000
	v_add_u32_e32 v23, 0x100, v23                              // 000000002998: 682E2EFF 00000100
	buffer_load_dwordx4 v23, s[16:19], 0 offen lds             // 0000000029A0: E05D1000 80040017
	s_add_u32 m0, m0, 0x1000                                   // 0000000029A8: 807CFF7C 00001000
	v_add_u32_e32 v23, 0x100, v23                              // 0000000029B0: 682E2EFF 00000100
	buffer_load_dwordx4 v23, s[16:19], 0 offen lds             // 0000000029B8: E05D1000 80040017
	s_add_u32 m0, m0, 0x1000                                   // 0000000029C0: 807CFF7C 00001000
	v_add_u32_e32 v23, 0x100, v23                              // 0000000029C8: 682E2EFF 00000100
	buffer_load_dwordx4 v23, s[16:19], 0 offen lds             // 0000000029D0: E05D1000 80040017
	s_add_u32 m0, m0, 0x1000                                   // 0000000029D8: 807CFF7C 00001000
	v_add_u32_e32 v23, 0x100, v23                              // 0000000029E0: 682E2EFF 00000100
	v_add_u32_e32 v23, 0x4300, v23                             // 0000000029E8: 682E2EFF 00004300
	s_mov_b32 s52, 0x7060302                                   // 0000000029F0: BEB400FF 07060302
	s_mov_b32 s53, 0x5040100                                   // 0000000029F8: BEB500FF 05040100
	s_mul_i32 s51, s7, 4                                       // 000000002A00: 92338407
	s_mov_b32 s6, 0x3fb8aa3b                                   // 000000002A04: BE8600FF 3FB8AA3B
	v_mov_b32_e32 v23, s6                                      // 000000002A0C: 7E2E0206
	v_mov_b32_e32 v22, s64                                     // 000000002A10: 7E2C0240
	v_mul_f32_e32 v22, s6, v22                                 // 000000002A14: 0A2C2C06
	v_rcp_f32_e32 v23, v23                                     // 000000002A18: 7E2E4517
	v_mov_b32_e32 v2, 0xff800000                               // 000000002A1C: 7E0402FF FF800000
	v_mov_b32_e32 v12, 0                                       // 000000002A24: 7E180280
	v_mov_b32_e32 v4, 0                                        // 000000002A28: 7E080280
	v_readfirstlane_b32 s5, v22                                // 000000002A2C: 7E0A0516
	v_readfirstlane_b32 s63, v23                               // 000000002A30: 7E7E0517
	s_waitcnt vmcnt(20)                                        // 000000002A34: BF8C4F74
	v_mul_u32_u24_e64 v25, v17, s68                            // 000000002A38: D1080019 00008911
	v_add_u32_e32 v25, v25, v1                                 // 000000002A40: 68320319
	s_mov_b32 s56, 0x14000                                     // 000000002A44: BEB800FF 00014000
	s_mul_i32 s57, s7, 0x2400                                  // 000000002A4C: 9239FF07 00002400
	s_add_u32 m0, s56, s57                                     // 000000002A54: 807C3938
	buffer_load_dwordx4 v25, s[20:23], 0 offen lds             // 000000002A58: E05D1000 80050019
	s_add_i32 m0, m0, 0x3c0                                    // 000000002A60: 817CFF7C 000003C0
	buffer_load_dwordx4 v25, s[20:23], 0 offen offset:64 lds   // 000000002A68: E05D1040 80050019
	s_add_i32 m0, m0, 0x3c0                                    // 000000002A70: 817CFF7C 000003C0
	buffer_load_dwordx4 v25, s[20:23], 0 offen offset:128 lds  // 000000002A78: E05D1080 80050019
	s_add_i32 m0, m0, 0x3c0                                    // 000000002A80: 817CFF7C 000003C0
	buffer_load_dwordx4 v25, s[20:23], 0 offen offset:192 lds  // 000000002A88: E05D10C0 80050019
	s_add_i32 m0, m0, 0x3c0                                    // 000000002A90: 817CFF7C 000003C0
	buffer_load_dwordx4 v25, s[20:23], 0 offen offset:256 lds  // 000000002A98: E05D1100 80050019
	s_add_i32 m0, m0, 0x3c0                                    // 000000002AA0: 817CFF7C 000003C0
	buffer_load_dwordx4 v25, s[20:23], 0 offen offset:320 lds  // 000000002AA8: E05D1140 80050019
	s_add_i32 m0, m0, 0x3c0                                    // 000000002AB0: 817CFF7C 000003C0
	buffer_load_dwordx4 v25, s[20:23], 0 offen offset:384 lds  // 000000002AB8: E05D1180 80050019
	s_add_i32 m0, m0, 0x3c0                                    // 000000002AC0: 817CFF7C 000003C0
	buffer_load_dwordx4 v25, s[20:23], 0 offen offset:448 lds  // 000000002AC8: E05D11C0 80050019
	s_add_i32 m0, m0, 0x3c0                                    // 000000002AD0: 817CFF7C 000003C0
	buffer_load_dwordx4 v25, s[20:23], 0 offen offset:512 lds  // 000000002AD8: E05D1200 80050019
	s_add_i32 m0, m0, 0x3c0                                    // 000000002AE0: 817CFF7C 000003C0
	buffer_load_dword v19, v21, s[24:27], 0 offen              // 000000002AE8: E0501000 80061315
	v_add_u32_e32 v21, s73, v21                                // 000000002AF0: 682A2A49
	v_lshrrev_b32_e32 v22, 4, v0                               // 000000002AF4: 202C0084
	v_lshlrev_b32_e32 v22, 2, v22                              // 000000002AF8: 242C2C82
	v_sub_u32_e32 v23, 12, v22                                 // 000000002AFC: 6A2E2C8C
	v_mov_b32_e32 v24, v23                                     // 000000002B00: 7E300317
	s_nop 1                                                    // 000000002B04: BF800001
	v_permlane16_swap_b32_e32 v23, v24                         // 000000002B08: 7E2EB318
	s_nop 1                                                    // 000000002B0C: BF800001
	v_permlane16_swap_b32_e32 v24, v23                         // 000000002B10: 7E30B317
	s_mov_b32 s56, 0xff00ff00                                  // 000000002B14: BEB800FF FF00FF00
	s_mov_b32 s57, 0xff00ff00                                  // 000000002B1C: BEB900FF FF00FF00
	v_cndmask_b32_e64 v24, v22, v23, s[56:57]                  // 000000002B24: D1000018 00E22F16
	v_and_b32_e32 v22, 15, v0                                  // 000000002B2C: 262C008F
	v_lshlrev_b32_e32 v22, 4, v22                              // 000000002B30: 242C2C84
	v_add_u32_e32 v4, v22, v24                                 // 000000002B34: 68083116
	v_lshlrev_b32_e32 v4, 2, v4                                // 000000002B38: 24080882
	s_mul_i32 s56, s7, 0x5000                                  // 000000002B3C: 9238FF07 00005000
	v_add_u32_e32 v4, s56, v4                                  // 000000002B44: 68080838
	s_waitcnt vmcnt(10)                                        // 000000002B48: BF8C0F7A
	s_barrier                                                  // 000000002B4C: BF8A0000
	ds_read_b128 a[0:3], v4                                    // 000000002B50: DBFE0000 00000004
	ds_read_b128 a[4:7], v4 offset:1024                        // 000000002B58: DBFE0400 04000004
	ds_read_b128 a[8:11], v4 offset:2048                       // 000000002B60: DBFE0800 08000004
	ds_read_b128 a[12:15], v4 offset:3072                      // 000000002B68: DBFE0C00 0C000004
	ds_read_b128 a[16:19], v4 offset:4096                      // 000000002B70: DBFE1000 10000004
	ds_read_b128 a[20:23], v4 offset:5120                      // 000000002B78: DBFE1400 14000004
	ds_read_b128 a[24:27], v4 offset:6144                      // 000000002B80: DBFE1800 18000004
	ds_read_b128 a[28:31], v4 offset:7168                      // 000000002B88: DBFE1C00 1C000004
	ds_read_b128 a[32:35], v4 offset:8192                      // 000000002B90: DBFE2000 20000004
	ds_read_b128 a[36:39], v4 offset:9216                      // 000000002B98: DBFE2400 24000004
	ds_read_b128 a[40:43], v4 offset:10240                     // 000000002BA0: DBFE2800 28000004
	ds_read_b128 a[44:47], v4 offset:11264                     // 000000002BA8: DBFE2C00 2C000004
	ds_read_b128 a[48:51], v4 offset:12288                     // 000000002BB0: DBFE3000 30000004
	ds_read_b128 a[52:55], v4 offset:13312                     // 000000002BB8: DBFE3400 34000004
	ds_read_b128 a[56:59], v4 offset:14336                     // 000000002BC0: DBFE3800 38000004
	ds_read_b128 a[60:63], v4 offset:15360                     // 000000002BC8: DBFE3C00 3C000004
	ds_read_b128 a[64:67], v4 offset:16384                     // 000000002BD0: DBFE4000 40000004
	ds_read_b128 a[68:71], v4 offset:17408                     // 000000002BD8: DBFE4400 44000004
	v_mov_b32_e32 v34, 0                                       // 000000002BE0: 7E440280
	v_mov_b32_e32 v35, 0                                       // 000000002BE4: 7E460280
	v_mov_b32_e32 v36, 0                                       // 000000002BE8: 7E480280
	v_mov_b32_e32 v37, 0                                       // 000000002BEC: 7E4A0280
	v_mov_b32_e32 v38, 0                                       // 000000002BF0: 7E4C0280
	v_mov_b32_e32 v39, 0                                       // 000000002BF4: 7E4E0280
	v_mov_b32_e32 v40, 0                                       // 000000002BF8: 7E500280
	v_mov_b32_e32 v41, 0                                       // 000000002BFC: 7E520280
	v_mov_b32_e32 v42, 0                                       // 000000002C00: 7E540280
	v_mov_b32_e32 v43, 0                                       // 000000002C04: 7E560280
	v_mov_b32_e32 v44, 0                                       // 000000002C08: 7E580280
	v_mov_b32_e32 v45, 0                                       // 000000002C0C: 7E5A0280
	v_mov_b32_e32 v46, 0                                       // 000000002C10: 7E5C0280
	v_mov_b32_e32 v47, 0                                       // 000000002C14: 7E5E0280
	v_mov_b32_e32 v48, 0                                       // 000000002C18: 7E600280
	v_mov_b32_e32 v49, 0                                       // 000000002C1C: 7E620280
	v_mov_b32_e32 v50, 0                                       // 000000002C20: 7E640280
	v_mov_b32_e32 v51, 0                                       // 000000002C24: 7E660280
	v_mov_b32_e32 v52, 0                                       // 000000002C28: 7E680280
	v_mov_b32_e32 v53, 0                                       // 000000002C2C: 7E6A0280
	v_mov_b32_e32 v54, 0                                       // 000000002C30: 7E6C0280
	v_mov_b32_e32 v55, 0                                       // 000000002C34: 7E6E0280
	v_mov_b32_e32 v56, 0                                       // 000000002C38: 7E700280
	v_mov_b32_e32 v57, 0                                       // 000000002C3C: 7E720280
	v_mov_b32_e32 v58, 0                                       // 000000002C40: 7E740280
	v_mov_b32_e32 v59, 0                                       // 000000002C44: 7E760280
	v_mov_b32_e32 v60, 0                                       // 000000002C48: 7E780280
	v_mov_b32_e32 v61, 0                                       // 000000002C4C: 7E7A0280
	v_mov_b32_e32 v62, 0                                       // 000000002C50: 7E7C0280
	v_mov_b32_e32 v63, 0                                       // 000000002C54: 7E7E0280
	v_mov_b32_e32 v64, 0                                       // 000000002C58: 7E800280
	v_mov_b32_e32 v65, 0                                       // 000000002C5C: 7E820280
	v_mov_b32_e32 v66, 0                                       // 000000002C60: 7E840280
	v_mov_b32_e32 v67, 0                                       // 000000002C64: 7E860280
	v_mov_b32_e32 v68, 0                                       // 000000002C68: 7E880280
	v_mov_b32_e32 v69, 0                                       // 000000002C6C: 7E8A0280
	v_mov_b32_e32 v70, 0                                       // 000000002C70: 7E8C0280
	v_mov_b32_e32 v71, 0                                       // 000000002C74: 7E8E0280
	v_mov_b32_e32 v72, 0                                       // 000000002C78: 7E900280
	v_mov_b32_e32 v73, 0                                       // 000000002C7C: 7E920280
	v_mov_b32_e32 v74, 0                                       // 000000002C80: 7E940280
	v_mov_b32_e32 v75, 0                                       // 000000002C84: 7E960280
	v_mov_b32_e32 v76, 0                                       // 000000002C88: 7E980280
	v_mov_b32_e32 v77, 0                                       // 000000002C8C: 7E9A0280
	v_mov_b32_e32 v78, 0                                       // 000000002C90: 7E9C0280
	v_mov_b32_e32 v79, 0                                       // 000000002C94: 7E9E0280
	v_mov_b32_e32 v80, 0                                       // 000000002C98: 7EA00280
	v_mov_b32_e32 v81, 0                                       // 000000002C9C: 7EA20280
	v_mov_b32_e32 v82, 0                                       // 000000002CA0: 7EA40280
	v_mov_b32_e32 v83, 0                                       // 000000002CA4: 7EA60280
	v_mov_b32_e32 v84, 0                                       // 000000002CA8: 7EA80280
	v_mov_b32_e32 v85, 0                                       // 000000002CAC: 7EAA0280
	v_mov_b32_e32 v86, 0                                       // 000000002CB0: 7EAC0280
	v_mov_b32_e32 v87, 0                                       // 000000002CB4: 7EAE0280
	v_mov_b32_e32 v88, 0                                       // 000000002CB8: 7EB00280
	v_mov_b32_e32 v89, 0                                       // 000000002CBC: 7EB20280
	v_mov_b32_e32 v90, 0                                       // 000000002CC0: 7EB40280
	v_mov_b32_e32 v91, 0                                       // 000000002CC4: 7EB60280
	v_mov_b32_e32 v92, 0                                       // 000000002CC8: 7EB80280
	v_mov_b32_e32 v93, 0                                       // 000000002CCC: 7EBA0280
	v_mov_b32_e32 v94, 0                                       // 000000002CD0: 7EBC0280
	v_mov_b32_e32 v95, 0                                       // 000000002CD4: 7EBE0280
	v_mov_b32_e32 v96, 0                                       // 000000002CD8: 7EC00280
	v_mov_b32_e32 v97, 0                                       // 000000002CDC: 7EC20280
	v_mov_b32_e32 v98, 0                                       // 000000002CE0: 7EC40280
	v_mov_b32_e32 v99, 0                                       // 000000002CE4: 7EC60280
	v_mov_b32_e32 v100, 0                                      // 000000002CE8: 7EC80280
	v_mov_b32_e32 v101, 0                                      // 000000002CEC: 7ECA0280
	v_mov_b32_e32 v102, 0                                      // 000000002CF0: 7ECC0280
	v_mov_b32_e32 v103, 0                                      // 000000002CF4: 7ECE0280
	v_mov_b32_e32 v104, 0                                      // 000000002CF8: 7ED00280
	v_mov_b32_e32 v105, 0                                      // 000000002CFC: 7ED20280
	v_mov_b32_e32 v106, 0                                      // 000000002D00: 7ED40280
	v_mov_b32_e32 v107, 0                                      // 000000002D04: 7ED60280
	v_mov_b32_e32 v108, 0                                      // 000000002D08: 7ED80280
	v_mov_b32_e32 v109, 0                                      // 000000002D0C: 7EDA0280
	v_mov_b32_e32 v110, 0                                      // 000000002D10: 7EDC0280
	v_mov_b32_e32 v111, 0                                      // 000000002D14: 7EDE0280
	v_mov_b32_e32 v112, 0                                      // 000000002D18: 7EE00280
	v_mov_b32_e32 v113, 0                                      // 000000002D1C: 7EE20280
	v_mov_b32_e32 v114, 0                                      // 000000002D20: 7EE40280
	v_mov_b32_e32 v115, 0                                      // 000000002D24: 7EE60280
	v_mov_b32_e32 v116, 0                                      // 000000002D28: 7EE80280
	v_mov_b32_e32 v117, 0                                      // 000000002D2C: 7EEA0280
	v_mov_b32_e32 v118, 0                                      // 000000002D30: 7EEC0280
	v_mov_b32_e32 v119, 0                                      // 000000002D34: 7EEE0280
	v_mov_b32_e32 v120, 0                                      // 000000002D38: 7EF00280
	v_mov_b32_e32 v121, 0                                      // 000000002D3C: 7EF20280
	v_mov_b32_e32 v122, 0                                      // 000000002D40: 7EF40280
	v_mov_b32_e32 v123, 0                                      // 000000002D44: 7EF60280
	v_mov_b32_e32 v124, 0                                      // 000000002D48: 7EF80280
	v_mov_b32_e32 v125, 0                                      // 000000002D4C: 7EFA0280
	v_mov_b32_e32 v126, 0                                      // 000000002D50: 7EFC0280
	v_mov_b32_e32 v127, 0                                      // 000000002D54: 7EFE0280
	v_mov_b32_e32 v128, 0                                      // 000000002D58: 7F000280
	v_mov_b32_e32 v129, 0                                      // 000000002D5C: 7F020280
	v_mov_b32_e32 v130, 0                                      // 000000002D60: 7F040280
	v_mov_b32_e32 v131, 0                                      // 000000002D64: 7F060280
	v_mov_b32_e32 v132, 0                                      // 000000002D68: 7F080280
	v_mov_b32_e32 v133, 0                                      // 000000002D6C: 7F0A0280
	v_mov_b32_e32 v134, 0                                      // 000000002D70: 7F0C0280
	v_mov_b32_e32 v135, 0                                      // 000000002D74: 7F0E0280
	v_mov_b32_e32 v136, 0                                      // 000000002D78: 7F100280
	v_mov_b32_e32 v137, 0                                      // 000000002D7C: 7F120280
	v_mov_b32_e32 v138, 0                                      // 000000002D80: 7F140280
	v_mov_b32_e32 v139, 0                                      // 000000002D84: 7F160280
	v_mov_b32_e32 v140, 0                                      // 000000002D88: 7F180280
	v_mov_b32_e32 v141, 0                                      // 000000002D8C: 7F1A0280
	v_mov_b32_e32 v142, 0                                      // 000000002D90: 7F1C0280
	v_mov_b32_e32 v143, 0                                      // 000000002D94: 7F1E0280
	v_mov_b32_e32 v144, 0                                      // 000000002D98: 7F200280
	v_mov_b32_e32 v145, 0                                      // 000000002D9C: 7F220280
	v_mov_b32_e32 v146, 0                                      // 000000002DA0: 7F240280
	v_mov_b32_e32 v147, 0                                      // 000000002DA4: 7F260280
	v_mov_b32_e32 v148, 0                                      // 000000002DA8: 7F280280
	v_mov_b32_e32 v149, 0                                      // 000000002DAC: 7F2A0280
	v_mov_b32_e32 v150, 0                                      // 000000002DB0: 7F2C0280
	v_mov_b32_e32 v151, 0                                      // 000000002DB4: 7F2E0280
	v_mov_b32_e32 v152, 0                                      // 000000002DB8: 7F300280
	v_mov_b32_e32 v153, 0                                      // 000000002DBC: 7F320280
	v_mov_b32_e32 v154, 0                                      // 000000002DC0: 7F340280
	v_mov_b32_e32 v155, 0                                      // 000000002DC4: 7F360280
	v_mov_b32_e32 v156, 0                                      // 000000002DC8: 7F380280
	v_mov_b32_e32 v157, 0                                      // 000000002DCC: 7F3A0280
	v_mov_b32_e32 v158, 0                                      // 000000002DD0: 7F3C0280
	v_mov_b32_e32 v159, 0                                      // 000000002DD4: 7F3E0280
	v_mov_b32_e32 v160, 0                                      // 000000002DD8: 7F400280
	v_mov_b32_e32 v161, 0                                      // 000000002DDC: 7F420280
	v_lshrrev_b32_e32 v22, 4, v0                               // 000000002DE0: 202C0084
	v_lshlrev_b32_e32 v22, 2, v22                              // 000000002DE4: 242C2C82
	v_sub_u32_e32 v23, 12, v22                                 // 000000002DE8: 6A2E2C8C
	v_mov_b32_e32 v24, v23                                     // 000000002DEC: 7E300317
	s_nop 1                                                    // 000000002DF0: BF800001
	v_permlane16_swap_b32_e32 v23, v24                         // 000000002DF4: 7E2EB318
	s_nop 1                                                    // 000000002DF8: BF800001
	v_permlane16_swap_b32_e32 v24, v23                         // 000000002DFC: 7E30B317
	s_mov_b32 s56, 0xff00ff00                                  // 000000002E00: BEB800FF FF00FF00
	s_mov_b32 s57, 0xff00ff00                                  // 000000002E08: BEB900FF FF00FF00
	v_cndmask_b32_e64 v24, v22, v23, s[56:57]                  // 000000002E10: D1000018 00E22F16
	v_and_b32_e32 v22, 15, v0                                  // 000000002E18: 262C008F
	v_lshlrev_b32_e32 v22, 4, v22                              // 000000002E1C: 242C2C84
	v_add_u32_e32 v14, v22, v24                                // 000000002E20: 681C3116
	v_lshlrev_b32_e32 v15, 2, v14                              // 000000002E24: 241E1C82
	s_mov_b32 s56, 0xb000                                      // 000000002E28: BEB800FF 0000B000
	v_add_u32_e32 v14, s56, v15                                // 000000002E30: 681C1E38
	s_mov_b32 s57, 0x9000                                      // 000000002E34: BEB900FF 00009000
	v_add_u32_e32 v15, s57, v14                                // 000000002E3C: 681E1C39
	v_add_u32_e32 v16, s57, v15                                // 000000002E40: 68201E39
	v_and_b32_e32 v22, 15, v0                                  // 000000002E44: 262C008F
	v_lshrrev_b32_e32 v23, 2, v22                              // 000000002E48: 202E2C82
	v_and_b32_e32 v24, 16, v0                                  // 000000002E4C: 26300090
	v_lshrrev_b32_e32 v24, 1, v24                              // 000000002E50: 20303081
	v_add_u32_e32 v25, v24, v23                                // 000000002E54: 68322F18
	v_lshlrev_b32_e32 v25, 4, v25                              // 000000002E58: 24323284
	v_and_b32_e32 v23, 3, v0                                   // 000000002E5C: 262E0083
	v_lshlrev_b32_e32 v24, 1, v23                              // 000000002E60: 24302E81
	v_add_u32_e32 v25, v25, v24                                // 000000002E64: 68323119
	v_mov_b32_e32 v22, 0                                       // 000000002E68: 7E2C0280
	v_mov_b32_e32 v23, 8                                       // 000000002E6C: 7E2E0288
	s_mov_b32 s57, 0xffff0000                                  // 000000002E70: BEB900FF FFFF0000
	s_mov_b32 s56, 0xffff0000                                  // 000000002E78: BEB800FF FFFF0000
	v_cndmask_b32_e64 v34, v22, v23, s[56:57]                  // 000000002E80: D1000022 00E22F16
	v_cndmask_b32_e64 v35, v23, v22, s[56:57]                  // 000000002E88: D1000023 00E22D17
	v_add_u32_e32 v6, v25, v34                                 // 000000002E90: 680C4519
	v_add_u32_e32 v7, v25, v35                                 // 000000002E94: 680E4719
	v_lshrrev_b32_e32 v22, 5, v0                               // 000000002E98: 202C0085
	s_mov_b32 s57, 0x1200                                      // 000000002E9C: BEB900FF 00001200
	v_mul_i32_i24_e32 v22, s57, v22                            // 000000002EA4: 0C2C2C39
	v_add_u32_e32 v6, v6, v22                                  // 000000002EA8: 680C2D06
	v_add_u32_e32 v7, v7, v22                                  // 000000002EAC: 680E2D07
	v_lshlrev_b32_e32 v6, 2, v6                                // 000000002EB0: 240C0C82
	v_lshlrev_b32_e32 v7, 2, v7                                // 000000002EB4: 240E0E82
	s_mov_b32 s56, 0xb000                                      // 000000002EB8: BEB800FF 0000B000
	v_add_u32_e32 v6, s56, v6                                  // 000000002EC0: 680C0C38
	v_add_u32_e32 v7, s56, v7                                  // 000000002EC4: 680E0E38
	s_mov_b32 s56, 0x9000                                      // 000000002EC8: BEB800FF 00009000
	v_add_u32_e32 v8, s56, v6                                  // 000000002ED0: 68100C38
	v_add_u32_e32 v9, s56, v7                                  // 000000002ED4: 68120E38
	v_add_u32_e32 v10, s56, v8                                 // 000000002ED8: 68141038
	v_add_u32_e32 v11, s56, v9                                 // 000000002EDC: 68161238
	v_mul_u32_u24_e64 v25, v18, s68                            // 000000002EE0: D1080019 00008912
	v_add_u32_e32 v25, v25, v1                                 // 000000002EE8: 68320319
	s_mov_b32 s56, 0x1d000                                     // 000000002EEC: BEB800FF 0001D000
	s_mul_i32 s57, s7, 0x2400                                  // 000000002EF4: 9239FF07 00002400
	s_add_u32 m0, s56, s57                                     // 000000002EFC: 807C3938
	buffer_load_dwordx4 v25, s[20:23], 0 offen lds             // 000000002F00: E05D1000 80050019
	s_add_i32 m0, m0, 0x3c0                                    // 000000002F08: 817CFF7C 000003C0
	buffer_load_dwordx4 v25, s[20:23], 0 offen offset:64 lds   // 000000002F10: E05D1040 80050019
	s_add_i32 m0, m0, 0x3c0                                    // 000000002F18: 817CFF7C 000003C0
	buffer_load_dwordx4 v25, s[20:23], 0 offen offset:128 lds  // 000000002F20: E05D1080 80050019
	s_add_i32 m0, m0, 0x3c0                                    // 000000002F28: 817CFF7C 000003C0
	buffer_load_dwordx4 v25, s[20:23], 0 offen offset:192 lds  // 000000002F30: E05D10C0 80050019
	s_add_i32 m0, m0, 0x3c0                                    // 000000002F38: 817CFF7C 000003C0
	buffer_load_dwordx4 v25, s[20:23], 0 offen offset:256 lds  // 000000002F40: E05D1100 80050019
	s_add_i32 m0, m0, 0x3c0                                    // 000000002F48: 817CFF7C 000003C0
	buffer_load_dwordx4 v25, s[20:23], 0 offen offset:320 lds  // 000000002F50: E05D1140 80050019
	s_add_i32 m0, m0, 0x3c0                                    // 000000002F58: 817CFF7C 000003C0
	buffer_load_dwordx4 v25, s[20:23], 0 offen offset:384 lds  // 000000002F60: E05D1180 80050019
	s_add_i32 m0, m0, 0x3c0                                    // 000000002F68: 817CFF7C 000003C0
	buffer_load_dwordx4 v25, s[20:23], 0 offen offset:448 lds  // 000000002F70: E05D11C0 80050019
	s_add_i32 m0, m0, 0x3c0                                    // 000000002F78: 817CFF7C 000003C0
	buffer_load_dwordx4 v25, s[20:23], 0 offen offset:512 lds  // 000000002F80: E05D1200 80050019
	s_add_i32 m0, m0, 0x3c0                                    // 000000002F88: 817CFF7C 000003C0
	buffer_load_dword v17, v21, s[24:27], 0 offen              // 000000002F90: E0501000 80061115
	v_add_u32_e32 v21, s73, v21                                // 000000002F98: 682A2A49
	s_waitcnt vmcnt(10)                                        // 000000002F9C: BF8C0F7A
	s_barrier                                                  // 000000002FA0: BF8A0000
	s_waitcnt lgkmcnt(0)                                       // 000000002FA4: BF8CC07F
	ds_read_b128 a[72:75], v15                                 // 000000002FA8: DBFE0000 4800000F
	ds_read_b128 a[76:79], v15 offset:1024                     // 000000002FB0: DBFE0400 4C00000F
	ds_read_b128 a[80:83], v15 offset:2048                     // 000000002FB8: DBFE0800 5000000F
	ds_read_b128 a[84:87], v15 offset:3072                     // 000000002FC0: DBFE0C00 5400000F
	ds_read_b128 a[88:91], v15 offset:4096                     // 000000002FC8: DBFE1000 5800000F
	ds_read_b128 a[92:95], v15 offset:5120                     // 000000002FD0: DBFE1400 5C00000F
	ds_read_b128 a[96:99], v15 offset:6144                     // 000000002FD8: DBFE1800 6000000F
	ds_read_b128 a[100:103], v15 offset:7168                   // 000000002FE0: DBFE1C00 6400000F
	ds_read_b128 a[104:107], v15 offset:8192                   // 000000002FE8: DBFE2000 6800000F
	ds_read_b128 a[108:111], v15 offset:9216                   // 000000002FF0: DBFE2400 6C00000F
	ds_read_b128 a[112:115], v15 offset:10240                  // 000000002FF8: DBFE2800 7000000F
	ds_read_b128 a[116:119], v15 offset:11264                  // 000000003000: DBFE2C00 7400000F
	ds_read_b128 a[120:123], v15 offset:12288                  // 000000003008: DBFE3000 7800000F
	ds_read_b128 a[124:127], v15 offset:13312                  // 000000003010: DBFE3400 7C00000F
	ds_read_b128 a[128:131], v15 offset:14336                  // 000000003018: DBFE3800 8000000F
	ds_read_b128 a[132:135], v15 offset:15360                  // 000000003020: DBFE3C00 8400000F
	ds_read_b128 a[136:139], v15 offset:16384                  // 000000003028: DBFE4000 8800000F
	ds_read_b128 a[140:143], v15 offset:17408                  // 000000003030: DBFE4400 8C00000F
	s_cmp_lt_u32 s71, 1                                        // 000000003038: BF0A8147
	s_cbranch_scc1 label_4AEC                                  // 00000000303C: BF850FAB
	s_cmp_lt_i32 s7, 2                                         // 000000003040: BF048207
	s_cbranch_scc0 label_2B9C                                  // 000000003044: BF8407D5

0000000000003048 <label_0C48>:
	s_waitcnt lgkmcnt(4)                                       // 000000003048: BF8CC47F
	v_mfma_f32_16x16x32_bf16 v[26:29], a[72:75], a[0:3], 0     // 00000000304C: D3B5001A 1A020148
	v_mul_u32_u24_e64 v25, v19, s68                            // 000000003054: D1080019 00008913
	v_add_u32_e32 v25, v25, v1                                 // 00000000305C: 68320319
	buffer_load_dword v18, v21, s[24:27], 0 offen              // 000000003060: E0501000 80061215
	ds_read_b128 a[72:75], v15 offset:18432                    // 000000003068: DBFE4800 4800000F
	v_mfma_f32_16x16x32_bf16 v[26:29], a[76:79], a[4:7], v[26:29]// 000000003070: D3B5001A 1C6A094C
	s_mov_b32 s56, 0xb000                                      // 000000003078: BEB800FF 0000B000
	s_mul_i32 s57, s7, 0x2400                                  // 000000003080: 9239FF07 00002400
	s_add_u32 m0, s56, s57                                     // 000000003088: 807C3938
	buffer_load_dwordx4 v25, s[20:23], 0 offen lds             // 00000000308C: E05D1000 80050019
	s_add_i32 m0, m0, 0x3c0                                    // 000000003094: 817CFF7C 000003C0
	v_mfma_f32_16x16x32_bf16 v[26:29], a[80:83], a[8:11], v[26:29]// 00000000309C: D3B5001A 1C6A1150
	ds_read_b128 a[76:79], v15 offset:19456                    // 0000000030A4: DBFE4C00 4C00000F
	v_mfma_f32_16x16x32_bf16 v[26:29], a[84:87], a[12:15], v[26:29]// 0000000030AC: D3B5001A 1C6A1954
	buffer_load_dwordx4 v25, s[20:23], 0 offen offset:64 lds   // 0000000030B4: E05D1040 80050019
	s_add_i32 m0, m0, 0x3c0                                    // 0000000030BC: 817CFF7C 000003C0
	v_mfma_f32_16x16x32_bf16 v[26:29], a[88:91], a[16:19], v[26:29]// 0000000030C4: D3B5001A 1C6A2158
	ds_read_b128 a[80:83], v15 offset:20480                    // 0000000030CC: DBFE5000 5000000F
	v_mfma_f32_16x16x32_bf16 v[26:29], a[92:95], a[20:23], v[26:29]// 0000000030D4: D3B5001A 1C6A295C
	buffer_load_dwordx4 v25, s[20:23], 0 offen offset:128 lds  // 0000000030DC: E05D1080 80050019
	s_add_i32 m0, m0, 0x3c0                                    // 0000000030E4: 817CFF7C 000003C0
	v_mfma_f32_16x16x32_bf16 v[26:29], a[96:99], a[24:27], v[26:29]// 0000000030EC: D3B5001A 1C6A3160
	ds_read_b128 a[84:87], v15 offset:21504                    // 0000000030F4: DBFE5400 5400000F
	v_mfma_f32_16x16x32_bf16 v[26:29], a[100:103], a[28:31], v[26:29]// 0000000030FC: D3B5001A 1C6A3964
	buffer_load_dwordx4 v25, s[20:23], 0 offen offset:192 lds  // 000000003104: E05D10C0 80050019
	s_add_i32 m0, m0, 0x3c0                                    // 00000000310C: 817CFF7C 000003C0
	v_mfma_f32_16x16x32_bf16 v[26:29], a[104:107], a[32:35], v[26:29]// 000000003114: D3B5001A 1C6A4168
	ds_read_b128 a[88:91], v15 offset:22528                    // 00000000311C: DBFE5800 5800000F
	v_mfma_f32_16x16x32_bf16 v[26:29], a[108:111], a[36:39], v[26:29]// 000000003124: D3B5001A 1C6A496C
	buffer_load_dwordx4 v25, s[20:23], 0 offen offset:256 lds  // 00000000312C: E05D1100 80050019
	s_add_i32 m0, m0, 0x3c0                                    // 000000003134: 817CFF7C 000003C0
	v_mfma_f32_16x16x32_bf16 v[26:29], a[112:115], a[40:43], v[26:29]// 00000000313C: D3B5001A 1C6A5170
	ds_read_b128 a[92:95], v15 offset:23552                    // 000000003144: DBFE5C00 5C00000F
	v_mfma_f32_16x16x32_bf16 v[26:29], a[116:119], a[44:47], v[26:29]// 00000000314C: D3B5001A 1C6A5974
	buffer_load_dwordx4 v25, s[20:23], 0 offen offset:320 lds  // 000000003154: E05D1140 80050019
	s_add_i32 m0, m0, 0x3c0                                    // 00000000315C: 817CFF7C 000003C0
	v_mfma_f32_16x16x32_bf16 v[26:29], a[120:123], a[48:51], v[26:29]// 000000003164: D3B5001A 1C6A6178
	ds_read_b128 a[96:99], v15 offset:24576                    // 00000000316C: DBFE6000 6000000F
	v_mfma_f32_16x16x32_bf16 v[26:29], a[124:127], a[52:55], v[26:29]// 000000003174: D3B5001A 1C6A697C
	buffer_load_dwordx4 v25, s[20:23], 0 offen offset:384 lds  // 00000000317C: E05D1180 80050019
	s_add_i32 m0, m0, 0x3c0                                    // 000000003184: 817CFF7C 000003C0
	v_mfma_f32_16x16x32_bf16 v[26:29], a[128:131], a[56:59], v[26:29]// 00000000318C: D3B5001A 1C6A7180
	ds_read_b128 a[100:103], v15 offset:25600                  // 000000003194: DBFE6400 6400000F
	v_mfma_f32_16x16x32_bf16 v[26:29], a[132:135], a[60:63], v[26:29]// 00000000319C: D3B5001A 1C6A7984
	buffer_load_dwordx4 v25, s[20:23], 0 offen offset:448 lds  // 0000000031A4: E05D11C0 80050019
	s_add_i32 m0, m0, 0x3c0                                    // 0000000031AC: 817CFF7C 000003C0
	v_mfma_f32_16x16x32_bf16 v[26:29], a[136:139], a[64:67], v[26:29]// 0000000031B4: D3B5001A 1C6A8188
	ds_read_b128 a[104:107], v15 offset:26624                  // 0000000031BC: DBFE6800 6800000F
	v_mfma_f32_16x16x32_bf16 v[26:29], a[140:143], a[68:71], v[26:29]// 0000000031C4: D3B5001A 1C6A898C
	buffer_load_dwordx4 v25, s[20:23], 0 offen offset:512 lds  // 0000000031CC: E05D1200 80050019
	s_add_i32 m0, m0, 0x3c0                                    // 0000000031D4: 817CFF7C 000003C0
	ds_read_b128 a[108:111], v15 offset:27648                  // 0000000031DC: DBFE6C00 6C00000F
	ds_read_b128 a[112:115], v15 offset:28672                  // 0000000031E4: DBFE7000 7000000F
	ds_read_b128 a[116:119], v15 offset:29696                  // 0000000031EC: DBFE7400 7400000F
	ds_read_b128 a[120:123], v15 offset:30720                  // 0000000031F4: DBFE7800 7800000F
	ds_read_b128 a[124:127], v15 offset:31744                  // 0000000031FC: DBFE7C00 7C00000F
	ds_read_b128 a[128:131], v15 offset:32768                  // 000000003204: DBFE8000 8000000F
	ds_read_b128 a[132:135], v15 offset:33792                  // 00000000320C: DBFE8400 8400000F
	ds_read_b128 a[136:139], v15 offset:34816                  // 000000003214: DBFE8800 8800000F
	ds_read_b128 a[140:143], v15 offset:35840                  // 00000000321C: DBFE8C00 8C00000F
	v_add_u32_e32 v21, s73, v21                                // 000000003224: 682A2A49
	s_waitcnt lgkmcnt(4)                                       // 000000003228: BF8CC47F
	v_mfma_f32_16x16x32_bf16 v[30:33], a[72:75], a[0:3], 0     // 00000000322C: D3B5001E 1A020148
	ds_read_b64_tr_b16 a[144:145], v8                          // 000000003234: DBC60000 90000008
	ds_read_b64_tr_b16 a[146:147], v8 offset:256               // 00000000323C: DBC60100 92000008
	ds_read_b64_tr_b16 a[148:149], v9                          // 000000003244: DBC60000 94000009
	ds_read_b64_tr_b16 a[150:151], v9 offset:256               // 00000000324C: DBC60100 96000009
	v_mfma_f32_16x16x32_bf16 v[30:33], a[76:79], a[4:7], v[30:33]// 000000003254: D3B5001E 1C7A094C
	v_mfma_f32_16x16x32_bf16 v[30:33], a[80:83], a[8:11], v[30:33]// 00000000325C: D3B5001E 1C7A1150
	ds_read_b64_tr_b16 a[152:153], v8 offset:1024              // 000000003264: DBC60400 98000008
	ds_read_b64_tr_b16 a[154:155], v8 offset:1280              // 00000000326C: DBC60500 9A000008
	ds_read_b64_tr_b16 a[156:157], v9 offset:1024              // 000000003274: DBC60400 9C000009
	ds_read_b64_tr_b16 a[158:159], v9 offset:1280              // 00000000327C: DBC60500 9E000009
	v_mfma_f32_16x16x32_bf16 v[30:33], a[84:87], a[12:15], v[30:33]// 000000003284: D3B5001E 1C7A1954
	v_mfma_f32_16x16x32_bf16 v[30:33], a[88:91], a[16:19], v[30:33]// 00000000328C: D3B5001E 1C7A2158
	ds_read_b64_tr_b16 a[160:161], v8 offset:2048              // 000000003294: DBC60800 A0000008
	ds_read_b64_tr_b16 a[162:163], v8 offset:2304              // 00000000329C: DBC60900 A2000008
	ds_read_b64_tr_b16 a[164:165], v9 offset:2048              // 0000000032A4: DBC60800 A4000009
	ds_read_b64_tr_b16 a[166:167], v9 offset:2304              // 0000000032AC: DBC60900 A6000009
	v_mfma_f32_16x16x32_bf16 v[30:33], a[92:95], a[20:23], v[30:33]// 0000000032B4: D3B5001E 1C7A295C
	v_mfma_f32_16x16x32_bf16 v[30:33], a[96:99], a[24:27], v[30:33]// 0000000032BC: D3B5001E 1C7A3160
	ds_read_b64_tr_b16 a[168:169], v8 offset:3072              // 0000000032C4: DBC60C00 A8000008
	ds_read_b64_tr_b16 a[170:171], v8 offset:3328              // 0000000032CC: DBC60D00 AA000008
	ds_read_b64_tr_b16 a[172:173], v9 offset:3072              // 0000000032D4: DBC60C00 AC000009
	ds_read_b64_tr_b16 a[174:175], v9 offset:3328              // 0000000032DC: DBC60D00 AE000009
	v_mfma_f32_16x16x32_bf16 v[30:33], a[100:103], a[28:31], v[30:33]// 0000000032E4: D3B5001E 1C7A3964
	v_mfma_f32_16x16x32_bf16 v[30:33], a[104:107], a[32:35], v[30:33]// 0000000032EC: D3B5001E 1C7A4168
	ds_read_b64_tr_b16 a[176:177], v8 offset:4096              // 0000000032F4: DBC61000 B0000008
	ds_read_b64_tr_b16 a[178:179], v8 offset:4352              // 0000000032FC: DBC61100 B2000008
	ds_read_b64_tr_b16 a[180:181], v9 offset:4096              // 000000003304: DBC61000 B4000009
	ds_read_b64_tr_b16 a[182:183], v9 offset:4352              // 00000000330C: DBC61100 B6000009
	v_mfma_f32_16x16x32_bf16 v[30:33], a[108:111], a[36:39], v[30:33]// 000000003314: D3B5001E 1C7A496C
	v_mfma_f32_16x16x32_bf16 v[30:33], a[112:115], a[40:43], v[30:33]// 00000000331C: D3B5001E 1C7A5170
	ds_read_b64_tr_b16 a[184:185], v8 offset:5120              // 000000003324: DBC61400 B8000008
	ds_read_b64_tr_b16 a[186:187], v8 offset:5376              // 00000000332C: DBC61500 BA000008
	ds_read_b64_tr_b16 a[188:189], v9 offset:5120              // 000000003334: DBC61400 BC000009
	ds_read_b64_tr_b16 a[190:191], v9 offset:5376              // 00000000333C: DBC61500 BE000009
	v_mfma_f32_16x16x32_bf16 v[30:33], a[116:119], a[44:47], v[30:33]// 000000003344: D3B5001E 1C7A5974
	v_mfma_f32_16x16x32_bf16 v[30:33], a[120:123], a[48:51], v[30:33]// 00000000334C: D3B5001E 1C7A6178
	ds_read_b64_tr_b16 a[192:193], v8 offset:6144              // 000000003354: DBC61800 C0000008
	ds_read_b64_tr_b16 a[194:195], v8 offset:6400              // 00000000335C: DBC61900 C2000008
	ds_read_b64_tr_b16 a[196:197], v9 offset:6144              // 000000003364: DBC61800 C4000009
	ds_read_b64_tr_b16 a[198:199], v9 offset:6400              // 00000000336C: DBC61900 C6000009
	v_mfma_f32_16x16x32_bf16 v[30:33], a[124:127], a[52:55], v[30:33]// 000000003374: D3B5001E 1C7A697C
	v_mfma_f32_16x16x32_bf16 v[30:33], a[128:131], a[56:59], v[30:33]// 00000000337C: D3B5001E 1C7A7180
	ds_read_b64_tr_b16 a[200:201], v8 offset:7168              // 000000003384: DBC61C00 C8000008
	ds_read_b64_tr_b16 a[202:203], v8 offset:7424              // 00000000338C: DBC61D00 CA000008
	ds_read_b64_tr_b16 a[204:205], v9 offset:7168              // 000000003394: DBC61C00 CC000009
	ds_read_b64_tr_b16 a[206:207], v9 offset:7424              // 00000000339C: DBC61D00 CE000009
	v_mfma_f32_16x16x32_bf16 v[30:33], a[132:135], a[60:63], v[30:33]// 0000000033A4: D3B5001E 1C7A7984
	v_mfma_f32_16x16x32_bf16 v[30:33], a[136:139], a[64:67], v[30:33]// 0000000033AC: D3B5001E 1C7A8188
	v_mfma_f32_16x16x32_bf16 v[30:33], a[140:143], a[68:71], v[30:33]// 0000000033B4: D3B5001E 1C7A898C
	s_cmp_le_i32 s83, s82                                      // 0000000033BC: BF055253
	s_cbranch_scc1 label_10B8                                  // 0000000033C0: BF85003D
	v_mov_b32_e32 v22, s82                                     // 0000000033C4: 7E2C0252
	s_sub_u32 s58, s81, s80                                    // 0000000033C8: 80BA5051
	s_add_u32 s58, s58, s7                                     // 0000000033CC: 803A073A
	v_add_u32_e32 v22, s58, v22                                // 0000000033D0: 682C2C3A
	s_sub_u32 s56, s83, 31                                     // 0000000033D4: 80B89F53
	v_lshrrev_b32_e32 v162, 4, v0                              // 0000000033D8: 21440084
	v_mul_i32_i24_e32 v162, 4, v162                            // 0000000033DC: 0D454484
	v_add_u32_e32 v162, s56, v162                              // 0000000033E0: 69454438
	v_add_u32_e32 v163, 1, v162                                // 0000000033E4: 69474481
	v_add_u32_e32 v164, 2, v162                                // 0000000033E8: 69494482
	v_add_u32_e32 v165, 3, v162                                // 0000000033EC: 694B4483
	v_mov_b32_e32 v23, 0xff800000                              // 0000000033F0: 7E2E02FF FF800000
	v_cmp_le_u32_e64 s[36:37], v162, v22                       // 0000000033F8: D0CB0024 00022DA2
	v_add_u32_e32 v162, 16, v162                               // 000000003400: 69454490
	s_nop 0                                                    // 000000003404: BF800000
	v_cndmask_b32_e64 v26, v23, v26, s[36:37]                  // 000000003408: D100001A 00923517
	v_cmp_le_u32_e64 s[36:37], v163, v22                       // 000000003410: D0CB0024 00022DA3
	v_add_u32_e32 v163, 16, v163                               // 000000003418: 69474690
	s_nop 0                                                    // 00000000341C: BF800000
	v_cndmask_b32_e64 v27, v23, v27, s[36:37]                  // 000000003420: D100001B 00923717
	v_cmp_le_u32_e64 s[36:37], v164, v22                       // 000000003428: D0CB0024 00022DA4
	v_add_u32_e32 v164, 16, v164                               // 000000003430: 69494890
	s_nop 0                                                    // 000000003434: BF800000
	v_cndmask_b32_e64 v28, v23, v28, s[36:37]                  // 000000003438: D100001C 00923917
	v_cmp_le_u32_e64 s[36:37], v165, v22                       // 000000003440: D0CB0024 00022DA5
	v_add_u32_e32 v165, 16, v165                               // 000000003448: 694B4A90
	s_nop 0                                                    // 00000000344C: BF800000
	v_cndmask_b32_e64 v29, v23, v29, s[36:37]                  // 000000003450: D100001D 00923B17
	v_cmp_le_u32_e64 s[36:37], v162, v22                       // 000000003458: D0CB0024 00022DA2
	v_add_u32_e32 v162, 16, v162                               // 000000003460: 69454490
	s_nop 0                                                    // 000000003464: BF800000
	v_cndmask_b32_e64 v30, v23, v30, s[36:37]                  // 000000003468: D100001E 00923D17
	v_cmp_le_u32_e64 s[36:37], v163, v22                       // 000000003470: D0CB0024 00022DA3
	v_add_u32_e32 v163, 16, v163                               // 000000003478: 69474690
	s_nop 0                                                    // 00000000347C: BF800000
	v_cndmask_b32_e64 v31, v23, v31, s[36:37]                  // 000000003480: D100001F 00923F17
	v_cmp_le_u32_e64 s[36:37], v164, v22                       // 000000003488: D0CB0024 00022DA4
	v_add_u32_e32 v164, 16, v164                               // 000000003490: 69494890
	s_nop 0                                                    // 000000003494: BF800000
	v_cndmask_b32_e64 v32, v23, v32, s[36:37]                  // 000000003498: D1000020 00924117
	v_cmp_le_u32_e64 s[36:37], v165, v22                       // 0000000034A0: D0CB0024 00022DA5
	v_add_u32_e32 v165, 16, v165                               // 0000000034A8: 694B4A90
	s_nop 0                                                    // 0000000034AC: BF800000
	v_cndmask_b32_e64 v33, v23, v33, s[36:37]                  // 0000000034B0: D1000021 00924317

00000000000034b8 <label_10B8>:
	s_add_u32 s83, s84, s83                                    // 0000000034B8: 80535354
	s_nop 2                                                    // 0000000034BC: BF800002
	v_mov_b32_e32 v23, v26                                     // 0000000034C0: 7E2E031A
	v_max3_f32 v23, v26, v27, v23                              // 0000000034C4: D1D30017 045E371A
	v_max3_f32 v23, v28, v29, v23                              // 0000000034CC: D1D30017 045E3B1C
	v_max3_f32 v23, v30, v31, v23                              // 0000000034D4: D1D30017 045E3F1E
	v_max3_f32 v23, v32, v33, v23                              // 0000000034DC: D1D30017 045E4320
	v_mov_b32_e32 v22, v23                                     // 0000000034E4: 7E2C0317
	v_mov_b32_e32 v23, v23                                     // 0000000034E8: 7E2E0317
	s_nop 1                                                    // 0000000034EC: BF800001
	v_permlane16_swap_b32_e32 v22, v23                         // 0000000034F0: 7E2CB317
	v_mov_b32_e32 v25, v22                                     // 0000000034F4: 7E320316
	v_mov_b32_e32 v24, v23                                     // 0000000034F8: 7E300317
	s_nop 1                                                    // 0000000034FC: BF800001
	v_permlane32_swap_b32_e32 v22, v23                         // 000000003500: 7E2CB517
	v_permlane32_swap_b32_e32 v24, v25                         // 000000003504: 7E30B519
	v_max3_f32 v23, v22, v23, v23                              // 000000003508: D1D30017 045E2F16
	v_max3_f32 v23, v24, v25, v23                              // 000000003510: D1D30017 045E3318
	v_mov_b32_e32 v22, 0xff800000                              // 000000003518: 7E2C02FF FF800000
	v_cmp_eq_u32_e64 s[36:37], v22, v2                         // 000000003520: D0CA0024 00020516
	v_max_f32_e32 v23, v23, v2                                 // 000000003528: 162E0517
	v_sub_f32_e32 v12, v2, v23                                 // 00000000352C: 04182F02
	v_cndmask_b32_e64 v12, v12, 0, s[36:37]                    // 000000003530: D100000C 0091010C
	v_mov_b32_e32 v2, v23                                      // 000000003538: 7E040317
	v_mul_f32_e32 v23, s5, v23                                 // 00000000353C: 0A2E2E05
	v_mul_f32_e32 v12, s5, v12                                 // 000000003540: 0A181805
	v_exp_f32_e32 v12, v12                                     // 000000003544: 7E18410C
	v_fma_f32 v26, v26, s5, -v23                               // 000000003548: D1CB001A 845C0B1A
	v_fma_f32 v27, v27, s5, -v23                               // 000000003550: D1CB001B 845C0B1B
	v_fma_f32 v28, v28, s5, -v23                               // 000000003558: D1CB001C 845C0B1C
	v_fma_f32 v29, v29, s5, -v23                               // 000000003560: D1CB001D 845C0B1D
	v_fma_f32 v30, v30, s5, -v23                               // 000000003568: D1CB001E 845C0B1E
	v_fma_f32 v31, v31, s5, -v23                               // 000000003570: D1CB001F 845C0B1F
	v_fma_f32 v32, v32, s5, -v23                               // 000000003578: D1CB0020 845C0B20
	v_fma_f32 v33, v33, s5, -v23                               // 000000003580: D1CB0021 845C0B21
	v_exp_f32_e32 v26, v26                                     // 000000003588: 7E34411A
	v_exp_f32_e32 v27, v27                                     // 00000000358C: 7E36411B
	v_exp_f32_e32 v28, v28                                     // 000000003590: 7E38411C
	v_exp_f32_e32 v29, v29                                     // 000000003594: 7E3A411D
	v_exp_f32_e32 v30, v30                                     // 000000003598: 7E3C411E
	v_exp_f32_e32 v31, v31                                     // 00000000359C: 7E3E411F
	v_exp_f32_e32 v32, v32                                     // 0000000035A0: 7E404120
	v_exp_f32_e32 v33, v33                                     // 0000000035A4: 7E424121
	v_mul_f32_e32 v4, v12, v4                                  // 0000000035A8: 0A08090C
	v_mov_b32_e32 v22, v26                                     // 0000000035AC: 7E2C031A
	v_add_f32_e32 v22, v27, v22                                // 0000000035B0: 022C2D1B
	v_add_f32_e32 v22, v28, v22                                // 0000000035B4: 022C2D1C
	v_add_f32_e32 v22, v29, v22                                // 0000000035B8: 022C2D1D
	v_add_f32_e32 v22, v30, v22                                // 0000000035BC: 022C2D1E
	v_add_f32_e32 v22, v31, v22                                // 0000000035C0: 022C2D1F
	v_add_f32_e32 v22, v32, v22                                // 0000000035C4: 022C2D20
	v_add_f32_e32 v22, v33, v22                                // 0000000035C8: 022C2D21
	v_add_f32_e32 v4, v22, v4                                  // 0000000035CC: 02080916
	v_cvt_pk_bf16_f32 v26, v26, v27                            // 0000000035D0: D268001A 0002371A
	v_cvt_pk_bf16_f32 v27, v28, v29                            // 0000000035D8: D268001B 00023B1C
	v_cvt_pk_bf16_f32 v28, v30, v31                            // 0000000035E0: D268001C 00023F1E
	v_cvt_pk_bf16_f32 v29, v32, v33                            // 0000000035E8: D268001D 00024320
	s_nop 0                                                    // 0000000035F0: BF800000
	v_permlane32_swap_b32_e32 v26, v28                         // 0000000035F4: 7E34B51C
	v_permlane32_swap_b32_e32 v27, v29                         // 0000000035F8: 7E36B51D
	s_nop 0                                                    // 0000000035FC: BF800000
	v_permlane16_swap_b32_e32 v26, v28                         // 000000003600: 7E34B31C
	v_permlane16_swap_b32_e32 v27, v29                         // 000000003604: 7E36B31D
	v_mul_f32_e32 v34, v12, v34                                // 000000003608: 0A44450C
	v_mul_f32_e32 v35, v12, v35                                // 00000000360C: 0A46470C
	v_mul_f32_e32 v36, v12, v36                                // 000000003610: 0A48490C
	v_mul_f32_e32 v37, v12, v37                                // 000000003614: 0A4A4B0C
	v_mul_f32_e32 v38, v12, v38                                // 000000003618: 0A4C4D0C
	v_mul_f32_e32 v39, v12, v39                                // 00000000361C: 0A4E4F0C
	v_mul_f32_e32 v40, v12, v40                                // 000000003620: 0A50510C
	v_mul_f32_e32 v41, v12, v41                                // 000000003624: 0A52530C
	v_mul_f32_e32 v42, v12, v42                                // 000000003628: 0A54550C
	v_mul_f32_e32 v43, v12, v43                                // 00000000362C: 0A56570C
	v_mul_f32_e32 v44, v12, v44                                // 000000003630: 0A58590C
	v_mul_f32_e32 v45, v12, v45                                // 000000003634: 0A5A5B0C
	v_mul_f32_e32 v46, v12, v46                                // 000000003638: 0A5C5D0C
	v_mul_f32_e32 v47, v12, v47                                // 00000000363C: 0A5E5F0C
	v_mul_f32_e32 v48, v12, v48                                // 000000003640: 0A60610C
	v_mul_f32_e32 v49, v12, v49                                // 000000003644: 0A62630C
	v_mul_f32_e32 v50, v12, v50                                // 000000003648: 0A64650C
	v_mul_f32_e32 v51, v12, v51                                // 00000000364C: 0A66670C
	v_mul_f32_e32 v52, v12, v52                                // 000000003650: 0A68690C
	v_mul_f32_e32 v53, v12, v53                                // 000000003654: 0A6A6B0C
	v_mul_f32_e32 v54, v12, v54                                // 000000003658: 0A6C6D0C
	v_mul_f32_e32 v55, v12, v55                                // 00000000365C: 0A6E6F0C
	v_mul_f32_e32 v56, v12, v56                                // 000000003660: 0A70710C
	v_mul_f32_e32 v57, v12, v57                                // 000000003664: 0A72730C
	v_mul_f32_e32 v58, v12, v58                                // 000000003668: 0A74750C
	v_mul_f32_e32 v59, v12, v59                                // 00000000366C: 0A76770C
	v_mul_f32_e32 v60, v12, v60                                // 000000003670: 0A78790C
	v_mul_f32_e32 v61, v12, v61                                // 000000003674: 0A7A7B0C
	v_mul_f32_e32 v62, v12, v62                                // 000000003678: 0A7C7D0C
	v_mul_f32_e32 v63, v12, v63                                // 00000000367C: 0A7E7F0C
	v_mul_f32_e32 v64, v12, v64                                // 000000003680: 0A80810C
	v_mul_f32_e32 v65, v12, v65                                // 000000003684: 0A82830C
	v_mul_f32_e32 v66, v12, v66                                // 000000003688: 0A84850C
	v_mul_f32_e32 v67, v12, v67                                // 00000000368C: 0A86870C
	v_mul_f32_e32 v68, v12, v68                                // 000000003690: 0A88890C
	v_mul_f32_e32 v69, v12, v69                                // 000000003694: 0A8A8B0C
	v_mul_f32_e32 v70, v12, v70                                // 000000003698: 0A8C8D0C
	v_mul_f32_e32 v71, v12, v71                                // 00000000369C: 0A8E8F0C
	v_mul_f32_e32 v72, v12, v72                                // 0000000036A0: 0A90910C
	v_mul_f32_e32 v73, v12, v73                                // 0000000036A4: 0A92930C
	v_mul_f32_e32 v74, v12, v74                                // 0000000036A8: 0A94950C
	v_mul_f32_e32 v75, v12, v75                                // 0000000036AC: 0A96970C
	v_mul_f32_e32 v76, v12, v76                                // 0000000036B0: 0A98990C
	v_mul_f32_e32 v77, v12, v77                                // 0000000036B4: 0A9A9B0C
	v_mul_f32_e32 v78, v12, v78                                // 0000000036B8: 0A9C9D0C
	v_mul_f32_e32 v79, v12, v79                                // 0000000036BC: 0A9E9F0C
	v_mul_f32_e32 v80, v12, v80                                // 0000000036C0: 0AA0A10C
	v_mul_f32_e32 v81, v12, v81                                // 0000000036C4: 0AA2A30C
	v_mul_f32_e32 v82, v12, v82                                // 0000000036C8: 0AA4A50C
	v_mul_f32_e32 v83, v12, v83                                // 0000000036CC: 0AA6A70C
	v_mul_f32_e32 v84, v12, v84                                // 0000000036D0: 0AA8A90C
	v_mul_f32_e32 v85, v12, v85                                // 0000000036D4: 0AAAAB0C
	v_mul_f32_e32 v86, v12, v86                                // 0000000036D8: 0AACAD0C
	v_mul_f32_e32 v87, v12, v87                                // 0000000036DC: 0AAEAF0C
	v_mul_f32_e32 v88, v12, v88                                // 0000000036E0: 0AB0B10C
	v_mul_f32_e32 v89, v12, v89                                // 0000000036E4: 0AB2B30C
	v_mul_f32_e32 v90, v12, v90                                // 0000000036E8: 0AB4B50C
	v_mul_f32_e32 v91, v12, v91                                // 0000000036EC: 0AB6B70C
	v_mul_f32_e32 v92, v12, v92                                // 0000000036F0: 0AB8B90C
	v_mul_f32_e32 v93, v12, v93                                // 0000000036F4: 0ABABB0C
	v_mul_f32_e32 v94, v12, v94                                // 0000000036F8: 0ABCBD0C
	v_mul_f32_e32 v95, v12, v95                                // 0000000036FC: 0ABEBF0C
	v_mul_f32_e32 v96, v12, v96                                // 000000003700: 0AC0C10C
	v_mul_f32_e32 v97, v12, v97                                // 000000003704: 0AC2C30C
	v_mul_f32_e32 v98, v12, v98                                // 000000003708: 0AC4C50C
	v_mul_f32_e32 v99, v12, v99                                // 00000000370C: 0AC6C70C
	v_mul_f32_e32 v100, v12, v100                              // 000000003710: 0AC8C90C
	v_mul_f32_e32 v101, v12, v101                              // 000000003714: 0ACACB0C
	v_mul_f32_e32 v102, v12, v102                              // 000000003718: 0ACCCD0C
	v_mul_f32_e32 v103, v12, v103                              // 00000000371C: 0ACECF0C
	v_mul_f32_e32 v104, v12, v104                              // 000000003720: 0AD0D10C
	v_mul_f32_e32 v105, v12, v105                              // 000000003724: 0AD2D30C
	v_mul_f32_e32 v106, v12, v106                              // 000000003728: 0AD4D50C
	v_mul_f32_e32 v107, v12, v107                              // 00000000372C: 0AD6D70C
	v_mul_f32_e32 v108, v12, v108                              // 000000003730: 0AD8D90C
	v_mul_f32_e32 v109, v12, v109                              // 000000003734: 0ADADB0C
	v_mul_f32_e32 v110, v12, v110                              // 000000003738: 0ADCDD0C
	v_mul_f32_e32 v111, v12, v111                              // 00000000373C: 0ADEDF0C
	v_mul_f32_e32 v112, v12, v112                              // 000000003740: 0AE0E10C
	v_mul_f32_e32 v113, v12, v113                              // 000000003744: 0AE2E30C
	v_mul_f32_e32 v114, v12, v114                              // 000000003748: 0AE4E50C
	v_mul_f32_e32 v115, v12, v115                              // 00000000374C: 0AE6E70C
	v_mul_f32_e32 v116, v12, v116                              // 000000003750: 0AE8E90C
	v_mul_f32_e32 v117, v12, v117                              // 000000003754: 0AEAEB0C
	v_mul_f32_e32 v118, v12, v118                              // 000000003758: 0AECED0C
	v_mul_f32_e32 v119, v12, v119                              // 00000000375C: 0AEEEF0C
	v_mul_f32_e32 v120, v12, v120                              // 000000003760: 0AF0F10C
	v_mul_f32_e32 v121, v12, v121                              // 000000003764: 0AF2F30C
	v_mul_f32_e32 v122, v12, v122                              // 000000003768: 0AF4F50C
	v_mul_f32_e32 v123, v12, v123                              // 00000000376C: 0AF6F70C
	v_mul_f32_e32 v124, v12, v124                              // 000000003770: 0AF8F90C
	v_mul_f32_e32 v125, v12, v125                              // 000000003774: 0AFAFB0C
	v_mul_f32_e32 v126, v12, v126                              // 000000003778: 0AFCFD0C
	v_mul_f32_e32 v127, v12, v127                              // 00000000377C: 0AFEFF0C
	v_mul_f32_e32 v128, v12, v128                              // 000000003780: 0B01010C
	v_mul_f32_e32 v129, v12, v129                              // 000000003784: 0B03030C
	v_mul_f32_e32 v130, v12, v130                              // 000000003788: 0B05050C
	v_mul_f32_e32 v131, v12, v131                              // 00000000378C: 0B07070C
	v_mul_f32_e32 v132, v12, v132                              // 000000003790: 0B09090C
	v_mul_f32_e32 v133, v12, v133                              // 000000003794: 0B0B0B0C
	v_mul_f32_e32 v134, v12, v134                              // 000000003798: 0B0D0D0C
	v_mul_f32_e32 v135, v12, v135                              // 00000000379C: 0B0F0F0C
	v_mul_f32_e32 v136, v12, v136                              // 0000000037A0: 0B11110C
	v_mul_f32_e32 v137, v12, v137                              // 0000000037A4: 0B13130C
	v_mul_f32_e32 v138, v12, v138                              // 0000000037A8: 0B15150C
	v_mul_f32_e32 v139, v12, v139                              // 0000000037AC: 0B17170C
	v_mul_f32_e32 v140, v12, v140                              // 0000000037B0: 0B19190C
	v_mul_f32_e32 v141, v12, v141                              // 0000000037B4: 0B1B1B0C
	v_mul_f32_e32 v142, v12, v142                              // 0000000037B8: 0B1D1D0C
	v_mul_f32_e32 v143, v12, v143                              // 0000000037BC: 0B1F1F0C
	v_mul_f32_e32 v144, v12, v144                              // 0000000037C0: 0B21210C
	v_mul_f32_e32 v145, v12, v145                              // 0000000037C4: 0B23230C
	v_mul_f32_e32 v146, v12, v146                              // 0000000037C8: 0B25250C
	v_mul_f32_e32 v147, v12, v147                              // 0000000037CC: 0B27270C
	v_mul_f32_e32 v148, v12, v148                              // 0000000037D0: 0B29290C
	v_mul_f32_e32 v149, v12, v149                              // 0000000037D4: 0B2B2B0C
	v_mul_f32_e32 v150, v12, v150                              // 0000000037D8: 0B2D2D0C
	v_mul_f32_e32 v151, v12, v151                              // 0000000037DC: 0B2F2F0C
	v_mul_f32_e32 v152, v12, v152                              // 0000000037E0: 0B31310C
	v_mul_f32_e32 v153, v12, v153                              // 0000000037E4: 0B33330C
	v_mul_f32_e32 v154, v12, v154                              // 0000000037E8: 0B35350C
	v_mul_f32_e32 v155, v12, v155                              // 0000000037EC: 0B37370C
	v_mul_f32_e32 v156, v12, v156                              // 0000000037F0: 0B39390C
	v_mul_f32_e32 v157, v12, v157                              // 0000000037F4: 0B3B3B0C
	v_mul_f32_e32 v158, v12, v158                              // 0000000037F8: 0B3D3D0C
	v_mul_f32_e32 v159, v12, v159                              // 0000000037FC: 0B3F3F0C
	v_mul_f32_e32 v160, v12, v160                              // 000000003800: 0B41410C
	v_mul_f32_e32 v161, v12, v161                              // 000000003804: 0B43430C
	s_waitcnt lgkmcnt(0)                                       // 000000003808: BF8CC07F
	v_mfma_f32_16x16x32_bf16 v[34:37], a[144:147], v[26:29], v[34:37]// 00000000380C: D3B50022 0C8A3590
	v_mfma_f32_16x16x32_bf16 v[38:41], a[148:151], v[26:29], v[38:41]// 000000003814: D3B50026 0C9A3594
	v_mfma_f32_16x16x32_bf16 v[42:45], a[152:155], v[26:29], v[42:45]// 00000000381C: D3B5002A 0CAA3598
	v_mfma_f32_16x16x32_bf16 v[46:49], a[156:159], v[26:29], v[46:49]// 000000003824: D3B5002E 0CBA359C
	v_mfma_f32_16x16x32_bf16 v[50:53], a[160:163], v[26:29], v[50:53]// 00000000382C: D3B50032 0CCA35A0
	v_mfma_f32_16x16x32_bf16 v[54:57], a[164:167], v[26:29], v[54:57]// 000000003834: D3B50036 0CDA35A4
	v_mfma_f32_16x16x32_bf16 v[58:61], a[168:171], v[26:29], v[58:61]// 00000000383C: D3B5003A 0CEA35A8
	v_mfma_f32_16x16x32_bf16 v[62:65], a[172:175], v[26:29], v[62:65]// 000000003844: D3B5003E 0CFA35AC
	v_mfma_f32_16x16x32_bf16 v[66:69], a[176:179], v[26:29], v[66:69]// 00000000384C: D3B50042 0D0A35B0
	v_mfma_f32_16x16x32_bf16 v[70:73], a[180:183], v[26:29], v[70:73]// 000000003854: D3B50046 0D1A35B4
	v_mfma_f32_16x16x32_bf16 v[74:77], a[184:187], v[26:29], v[74:77]// 00000000385C: D3B5004A 0D2A35B8
	ds_read_b64_tr_b16 a[144:145], v8 offset:8192              // 000000003864: DBC62000 90000008
	ds_read_b64_tr_b16 a[146:147], v8 offset:8448              // 00000000386C: DBC62100 92000008
	ds_read_b64_tr_b16 a[148:149], v9 offset:8192              // 000000003874: DBC62000 94000009
	ds_read_b64_tr_b16 a[150:151], v9 offset:8448              // 00000000387C: DBC62100 96000009
	v_mfma_f32_16x16x32_bf16 v[78:81], a[188:191], v[26:29], v[78:81]// 000000003884: D3B5004E 0D3A35BC
	ds_read_b64_tr_b16 a[152:153], v8 offset:9216              // 00000000388C: DBC62400 98000008
	ds_read_b64_tr_b16 a[154:155], v8 offset:9472              // 000000003894: DBC62500 9A000008
	ds_read_b64_tr_b16 a[156:157], v9 offset:9216              // 00000000389C: DBC62400 9C000009
	ds_read_b64_tr_b16 a[158:159], v9 offset:9472              // 0000000038A4: DBC62500 9E000009
	v_mfma_f32_16x16x32_bf16 v[82:85], a[192:195], v[26:29], v[82:85]// 0000000038AC: D3B50052 0D4A35C0
	ds_read_b64_tr_b16 a[160:161], v8 offset:10240             // 0000000038B4: DBC62800 A0000008
	ds_read_b64_tr_b16 a[162:163], v8 offset:10496             // 0000000038BC: DBC62900 A2000008
	ds_read_b64_tr_b16 a[164:165], v9 offset:10240             // 0000000038C4: DBC62800 A4000009
	ds_read_b64_tr_b16 a[166:167], v9 offset:10496             // 0000000038CC: DBC62900 A6000009
	v_mfma_f32_16x16x32_bf16 v[86:89], a[196:199], v[26:29], v[86:89]// 0000000038D4: D3B50056 0D5A35C4
	ds_read_b64_tr_b16 a[168:169], v8 offset:11264             // 0000000038DC: DBC62C00 A8000008
	ds_read_b64_tr_b16 a[170:171], v8 offset:11520             // 0000000038E4: DBC62D00 AA000008
	ds_read_b64_tr_b16 a[172:173], v9 offset:11264             // 0000000038EC: DBC62C00 AC000009
	ds_read_b64_tr_b16 a[174:175], v9 offset:11520             // 0000000038F4: DBC62D00 AE000009
	v_mfma_f32_16x16x32_bf16 v[90:93], a[200:203], v[26:29], v[90:93]// 0000000038FC: D3B5005A 0D6A35C8
	ds_read_b64_tr_b16 a[176:177], v8 offset:12288             // 000000003904: DBC63000 B0000008
	ds_read_b64_tr_b16 a[178:179], v8 offset:12544             // 00000000390C: DBC63100 B2000008
	ds_read_b64_tr_b16 a[180:181], v9 offset:12288             // 000000003914: DBC63000 B4000009
	ds_read_b64_tr_b16 a[182:183], v9 offset:12544             // 00000000391C: DBC63100 B6000009
	v_mfma_f32_16x16x32_bf16 v[94:97], a[204:207], v[26:29], v[94:97]// 000000003924: D3B5005E 0D7A35CC
	ds_read_b64_tr_b16 a[184:185], v8 offset:13312             // 00000000392C: DBC63400 B8000008
	ds_read_b64_tr_b16 a[186:187], v8 offset:13568             // 000000003934: DBC63500 BA000008
	ds_read_b64_tr_b16 a[188:189], v9 offset:13312             // 00000000393C: DBC63400 BC000009
	ds_read_b64_tr_b16 a[190:191], v9 offset:13568             // 000000003944: DBC63500 BE000009
	ds_read_b64_tr_b16 a[192:193], v8 offset:14336             // 00000000394C: DBC63800 C0000008
	ds_read_b64_tr_b16 a[194:195], v8 offset:14592             // 000000003954: DBC63900 C2000008
	ds_read_b64_tr_b16 a[196:197], v9 offset:14336             // 00000000395C: DBC63800 C4000009
	ds_read_b64_tr_b16 a[198:199], v9 offset:14592             // 000000003964: DBC63900 C6000009
	ds_read_b64_tr_b16 a[200:201], v8 offset:15360             // 00000000396C: DBC63C00 C8000008
	ds_read_b64_tr_b16 a[202:203], v8 offset:15616             // 000000003974: DBC63D00 CA000008
	ds_read_b64_tr_b16 a[204:205], v9 offset:15360             // 00000000397C: DBC63C00 CC000009
	ds_read_b64_tr_b16 a[206:207], v9 offset:15616             // 000000003984: DBC63D00 CE000009
	s_waitcnt lgkmcnt(0)                                       // 00000000398C: BF8CC07F
	v_mfma_f32_16x16x32_bf16 v[98:101], a[144:147], v[26:29], v[98:101]// 000000003990: D3B50062 0D8A3590
	v_mfma_f32_16x16x32_bf16 v[102:105], a[148:151], v[26:29], v[102:105]// 000000003998: D3B50066 0D9A3594
	v_mfma_f32_16x16x32_bf16 v[106:109], a[152:155], v[26:29], v[106:109]// 0000000039A0: D3B5006A 0DAA3598
	v_mfma_f32_16x16x32_bf16 v[110:113], a[156:159], v[26:29], v[110:113]// 0000000039A8: D3B5006E 0DBA359C
	v_mfma_f32_16x16x32_bf16 v[114:117], a[160:163], v[26:29], v[114:117]// 0000000039B0: D3B50072 0DCA35A0
	s_waitcnt vmcnt(10)                                        // 0000000039B8: BF8C0F7A
	s_barrier                                                  // 0000000039BC: BF8A0000
	ds_read_b128 a[72:75], v16                                 // 0000000039C0: DBFE0000 48000010
	v_mfma_f32_16x16x32_bf16 v[118:121], a[164:167], v[26:29], v[118:121]// 0000000039C8: D3B50076 0DDA35A4
	ds_read_b128 a[76:79], v16 offset:1024                     // 0000000039D0: DBFE0400 4C000010
	v_mfma_f32_16x16x32_bf16 v[122:125], a[168:171], v[26:29], v[122:125]// 0000000039D8: D3B5007A 0DEA35A8
	ds_read_b128 a[80:83], v16 offset:2048                     // 0000000039E0: DBFE0800 50000010
	v_mfma_f32_16x16x32_bf16 v[126:129], a[172:175], v[26:29], v[126:129]// 0000000039E8: D3B5007E 0DFA35AC
	ds_read_b128 a[84:87], v16 offset:3072                     // 0000000039F0: DBFE0C00 54000010
	v_mfma_f32_16x16x32_bf16 v[130:133], a[176:179], v[26:29], v[130:133]// 0000000039F8: D3B50082 0E0A35B0
	ds_read_b128 a[88:91], v16 offset:4096                     // 000000003A00: DBFE1000 58000010
	v_mfma_f32_16x16x32_bf16 v[134:137], a[180:183], v[26:29], v[134:137]// 000000003A08: D3B50086 0E1A35B4
	ds_read_b128 a[92:95], v16 offset:5120                     // 000000003A10: DBFE1400 5C000010
	v_mfma_f32_16x16x32_bf16 v[138:141], a[184:187], v[26:29], v[138:141]// 000000003A18: D3B5008A 0E2A35B8
	ds_read_b128 a[96:99], v16 offset:6144                     // 000000003A20: DBFE1800 60000010
	v_mfma_f32_16x16x32_bf16 v[142:145], a[188:191], v[26:29], v[142:145]// 000000003A28: D3B5008E 0E3A35BC
	ds_read_b128 a[100:103], v16 offset:7168                   // 000000003A30: DBFE1C00 64000010
	v_mfma_f32_16x16x32_bf16 v[146:149], a[192:195], v[26:29], v[146:149]// 000000003A38: D3B50092 0E4A35C0
	ds_read_b128 a[104:107], v16 offset:8192                   // 000000003A40: DBFE2000 68000010
	v_mfma_f32_16x16x32_bf16 v[150:153], a[196:199], v[26:29], v[150:153]// 000000003A48: D3B50096 0E5A35C4
	ds_read_b128 a[108:111], v16 offset:9216                   // 000000003A50: DBFE2400 6C000010
	v_mfma_f32_16x16x32_bf16 v[154:157], a[200:203], v[26:29], v[154:157]// 000000003A58: D3B5009A 0E6A35C8
	ds_read_b128 a[112:115], v16 offset:10240                  // 000000003A60: DBFE2800 70000010
	v_mfma_f32_16x16x32_bf16 v[158:161], a[204:207], v[26:29], v[158:161]// 000000003A68: D3B5009E 0E7A35CC
	ds_read_b128 a[116:119], v16 offset:11264                  // 000000003A70: DBFE2C00 74000010
	ds_read_b128 a[120:123], v16 offset:12288                  // 000000003A78: DBFE3000 78000010
	ds_read_b128 a[124:127], v16 offset:13312                  // 000000003A80: DBFE3400 7C000010
	ds_read_b128 a[128:131], v16 offset:14336                  // 000000003A88: DBFE3800 80000010
	ds_read_b128 a[132:135], v16 offset:15360                  // 000000003A90: DBFE3C00 84000010
	ds_read_b128 a[136:139], v16 offset:16384                  // 000000003A98: DBFE4000 88000010
	ds_read_b128 a[140:143], v16 offset:17408                  // 000000003AA0: DBFE4400 8C000010
	s_addk_i32 s70, 0x1                                        // 000000003AA8: B7460001
	s_cmp_lt_i32 s70, s71                                      // 000000003AAC: BF044746
	s_cbranch_scc0 label_2B90                                  // 000000003AB0: BF840537
	s_waitcnt lgkmcnt(4)                                       // 000000003AB4: BF8CC47F
	v_mfma_f32_16x16x32_bf16 v[26:29], a[72:75], a[0:3], 0     // 000000003AB8: D3B5001A 1A020148
	v_mul_u32_u24_e64 v25, v17, s68                            // 000000003AC0: D1080019 00008911
	v_add_u32_e32 v25, v25, v1                                 // 000000003AC8: 68320319
	buffer_load_dword v19, v21, s[24:27], 0 offen              // 000000003ACC: E0501000 80061315
	ds_read_b128 a[72:75], v16 offset:18432                    // 000000003AD4: DBFE4800 48000010
	v_mfma_f32_16x16x32_bf16 v[26:29], a[76:79], a[4:7], v[26:29]// 000000003ADC: D3B5001A 1C6A094C
	s_mov_b32 s56, 0x14000                                     // 000000003AE4: BEB800FF 00014000
	s_mul_i32 s57, s7, 0x2400                                  // 000000003AEC: 9239FF07 00002400
	s_add_u32 m0, s56, s57                                     // 000000003AF4: 807C3938
	buffer_load_dwordx4 v25, s[20:23], 0 offen lds             // 000000003AF8: E05D1000 80050019
	s_add_i32 m0, m0, 0x3c0                                    // 000000003B00: 817CFF7C 000003C0
	v_mfma_f32_16x16x32_bf16 v[26:29], a[80:83], a[8:11], v[26:29]// 000000003B08: D3B5001A 1C6A1150
	ds_read_b128 a[76:79], v16 offset:19456                    // 000000003B10: DBFE4C00 4C000010
	v_mfma_f32_16x16x32_bf16 v[26:29], a[84:87], a[12:15], v[26:29]// 000000003B18: D3B5001A 1C6A1954
	buffer_load_dwordx4 v25, s[20:23], 0 offen offset:64 lds   // 000000003B20: E05D1040 80050019
	s_add_i32 m0, m0, 0x3c0                                    // 000000003B28: 817CFF7C 000003C0
	v_mfma_f32_16x16x32_bf16 v[26:29], a[88:91], a[16:19], v[26:29]// 000000003B30: D3B5001A 1C6A2158
	ds_read_b128 a[80:83], v16 offset:20480                    // 000000003B38: DBFE5000 50000010
	v_mfma_f32_16x16x32_bf16 v[26:29], a[92:95], a[20:23], v[26:29]// 000000003B40: D3B5001A 1C6A295C
	buffer_load_dwordx4 v25, s[20:23], 0 offen offset:128 lds  // 000000003B48: E05D1080 80050019
	s_add_i32 m0, m0, 0x3c0                                    // 000000003B50: 817CFF7C 000003C0
	v_mfma_f32_16x16x32_bf16 v[26:29], a[96:99], a[24:27], v[26:29]// 000000003B58: D3B5001A 1C6A3160
	ds_read_b128 a[84:87], v16 offset:21504                    // 000000003B60: DBFE5400 54000010
	v_mfma_f32_16x16x32_bf16 v[26:29], a[100:103], a[28:31], v[26:29]// 000000003B68: D3B5001A 1C6A3964
	buffer_load_dwordx4 v25, s[20:23], 0 offen offset:192 lds  // 000000003B70: E05D10C0 80050019
	s_add_i32 m0, m0, 0x3c0                                    // 000000003B78: 817CFF7C 000003C0
	v_mfma_f32_16x16x32_bf16 v[26:29], a[104:107], a[32:35], v[26:29]// 000000003B80: D3B5001A 1C6A4168
	ds_read_b128 a[88:91], v16 offset:22528                    // 000000003B88: DBFE5800 58000010
	v_mfma_f32_16x16x32_bf16 v[26:29], a[108:111], a[36:39], v[26:29]// 000000003B90: D3B5001A 1C6A496C
	buffer_load_dwordx4 v25, s[20:23], 0 offen offset:256 lds  // 000000003B98: E05D1100 80050019
	s_add_i32 m0, m0, 0x3c0                                    // 000000003BA0: 817CFF7C 000003C0
	v_mfma_f32_16x16x32_bf16 v[26:29], a[112:115], a[40:43], v[26:29]// 000000003BA8: D3B5001A 1C6A5170
	ds_read_b128 a[92:95], v16 offset:23552                    // 000000003BB0: DBFE5C00 5C000010
	v_mfma_f32_16x16x32_bf16 v[26:29], a[116:119], a[44:47], v[26:29]// 000000003BB8: D3B5001A 1C6A5974
	buffer_load_dwordx4 v25, s[20:23], 0 offen offset:320 lds  // 000000003BC0: E05D1140 80050019
	s_add_i32 m0, m0, 0x3c0                                    // 000000003BC8: 817CFF7C 000003C0
	v_mfma_f32_16x16x32_bf16 v[26:29], a[120:123], a[48:51], v[26:29]// 000000003BD0: D3B5001A 1C6A6178
	ds_read_b128 a[96:99], v16 offset:24576                    // 000000003BD8: DBFE6000 60000010
	v_mfma_f32_16x16x32_bf16 v[26:29], a[124:127], a[52:55], v[26:29]// 000000003BE0: D3B5001A 1C6A697C
	buffer_load_dwordx4 v25, s[20:23], 0 offen offset:384 lds  // 000000003BE8: E05D1180 80050019
	s_add_i32 m0, m0, 0x3c0                                    // 000000003BF0: 817CFF7C 000003C0
	v_mfma_f32_16x16x32_bf16 v[26:29], a[128:131], a[56:59], v[26:29]// 000000003BF8: D3B5001A 1C6A7180
	ds_read_b128 a[100:103], v16 offset:25600                  // 000000003C00: DBFE6400 64000010
	v_mfma_f32_16x16x32_bf16 v[26:29], a[132:135], a[60:63], v[26:29]// 000000003C08: D3B5001A 1C6A7984
	buffer_load_dwordx4 v25, s[20:23], 0 offen offset:448 lds  // 000000003C10: E05D11C0 80050019
	s_add_i32 m0, m0, 0x3c0                                    // 000000003C18: 817CFF7C 000003C0
	v_mfma_f32_16x16x32_bf16 v[26:29], a[136:139], a[64:67], v[26:29]// 000000003C20: D3B5001A 1C6A8188
	ds_read_b128 a[104:107], v16 offset:26624                  // 000000003C28: DBFE6800 68000010
	v_mfma_f32_16x16x32_bf16 v[26:29], a[140:143], a[68:71], v[26:29]// 000000003C30: D3B5001A 1C6A898C
	buffer_load_dwordx4 v25, s[20:23], 0 offen offset:512 lds  // 000000003C38: E05D1200 80050019
	s_add_i32 m0, m0, 0x3c0                                    // 000000003C40: 817CFF7C 000003C0
	ds_read_b128 a[108:111], v16 offset:27648                  // 000000003C48: DBFE6C00 6C000010
	ds_read_b128 a[112:115], v16 offset:28672                  // 000000003C50: DBFE7000 70000010
	ds_read_b128 a[116:119], v16 offset:29696                  // 000000003C58: DBFE7400 74000010
	ds_read_b128 a[120:123], v16 offset:30720                  // 000000003C60: DBFE7800 78000010
	ds_read_b128 a[124:127], v16 offset:31744                  // 000000003C68: DBFE7C00 7C000010
	ds_read_b128 a[128:131], v16 offset:32768                  // 000000003C70: DBFE8000 80000010
	ds_read_b128 a[132:135], v16 offset:33792                  // 000000003C78: DBFE8400 84000010
	ds_read_b128 a[136:139], v16 offset:34816                  // 000000003C80: DBFE8800 88000010
	ds_read_b128 a[140:143], v16 offset:35840                  // 000000003C88: DBFE8C00 8C000010
	v_add_u32_e32 v21, s73, v21                                // 000000003C90: 682A2A49
	s_waitcnt lgkmcnt(4)                                       // 000000003C94: BF8CC47F
	v_mfma_f32_16x16x32_bf16 v[30:33], a[72:75], a[0:3], 0     // 000000003C98: D3B5001E 1A020148
	ds_read_b64_tr_b16 a[144:145], v10                         // 000000003CA0: DBC60000 9000000A
	ds_read_b64_tr_b16 a[146:147], v10 offset:256              // 000000003CA8: DBC60100 9200000A
	ds_read_b64_tr_b16 a[148:149], v11                         // 000000003CB0: DBC60000 9400000B
	ds_read_b64_tr_b16 a[150:151], v11 offset:256              // 000000003CB8: DBC60100 9600000B
	v_mfma_f32_16x16x32_bf16 v[30:33], a[76:79], a[4:7], v[30:33]// 000000003CC0: D3B5001E 1C7A094C
	v_mfma_f32_16x16x32_bf16 v[30:33], a[80:83], a[8:11], v[30:33]// 000000003CC8: D3B5001E 1C7A1150
	ds_read_b64_tr_b16 a[152:153], v10 offset:1024             // 000000003CD0: DBC60400 9800000A
	ds_read_b64_tr_b16 a[154:155], v10 offset:1280             // 000000003CD8: DBC60500 9A00000A
	ds_read_b64_tr_b16 a[156:157], v11 offset:1024             // 000000003CE0: DBC60400 9C00000B
	ds_read_b64_tr_b16 a[158:159], v11 offset:1280             // 000000003CE8: DBC60500 9E00000B
	v_mfma_f32_16x16x32_bf16 v[30:33], a[84:87], a[12:15], v[30:33]// 000000003CF0: D3B5001E 1C7A1954
	v_mfma_f32_16x16x32_bf16 v[30:33], a[88:91], a[16:19], v[30:33]// 000000003CF8: D3B5001E 1C7A2158
	ds_read_b64_tr_b16 a[160:161], v10 offset:2048             // 000000003D00: DBC60800 A000000A
	ds_read_b64_tr_b16 a[162:163], v10 offset:2304             // 000000003D08: DBC60900 A200000A
	ds_read_b64_tr_b16 a[164:165], v11 offset:2048             // 000000003D10: DBC60800 A400000B
	ds_read_b64_tr_b16 a[166:167], v11 offset:2304             // 000000003D18: DBC60900 A600000B
	v_mfma_f32_16x16x32_bf16 v[30:33], a[92:95], a[20:23], v[30:33]// 000000003D20: D3B5001E 1C7A295C
	v_mfma_f32_16x16x32_bf16 v[30:33], a[96:99], a[24:27], v[30:33]// 000000003D28: D3B5001E 1C7A3160
	ds_read_b64_tr_b16 a[168:169], v10 offset:3072             // 000000003D30: DBC60C00 A800000A
	ds_read_b64_tr_b16 a[170:171], v10 offset:3328             // 000000003D38: DBC60D00 AA00000A
	ds_read_b64_tr_b16 a[172:173], v11 offset:3072             // 000000003D40: DBC60C00 AC00000B
	ds_read_b64_tr_b16 a[174:175], v11 offset:3328             // 000000003D48: DBC60D00 AE00000B
	v_mfma_f32_16x16x32_bf16 v[30:33], a[100:103], a[28:31], v[30:33]// 000000003D50: D3B5001E 1C7A3964
	v_mfma_f32_16x16x32_bf16 v[30:33], a[104:107], a[32:35], v[30:33]// 000000003D58: D3B5001E 1C7A4168
	ds_read_b64_tr_b16 a[176:177], v10 offset:4096             // 000000003D60: DBC61000 B000000A
	ds_read_b64_tr_b16 a[178:179], v10 offset:4352             // 000000003D68: DBC61100 B200000A
	ds_read_b64_tr_b16 a[180:181], v11 offset:4096             // 000000003D70: DBC61000 B400000B
	ds_read_b64_tr_b16 a[182:183], v11 offset:4352             // 000000003D78: DBC61100 B600000B
	v_mfma_f32_16x16x32_bf16 v[30:33], a[108:111], a[36:39], v[30:33]// 000000003D80: D3B5001E 1C7A496C
	v_mfma_f32_16x16x32_bf16 v[30:33], a[112:115], a[40:43], v[30:33]// 000000003D88: D3B5001E 1C7A5170
	ds_read_b64_tr_b16 a[184:185], v10 offset:5120             // 000000003D90: DBC61400 B800000A
	ds_read_b64_tr_b16 a[186:187], v10 offset:5376             // 000000003D98: DBC61500 BA00000A
	ds_read_b64_tr_b16 a[188:189], v11 offset:5120             // 000000003DA0: DBC61400 BC00000B
	ds_read_b64_tr_b16 a[190:191], v11 offset:5376             // 000000003DA8: DBC61500 BE00000B
	v_mfma_f32_16x16x32_bf16 v[30:33], a[116:119], a[44:47], v[30:33]// 000000003DB0: D3B5001E 1C7A5974
	v_mfma_f32_16x16x32_bf16 v[30:33], a[120:123], a[48:51], v[30:33]// 000000003DB8: D3B5001E 1C7A6178
	ds_read_b64_tr_b16 a[192:193], v10 offset:6144             // 000000003DC0: DBC61800 C000000A
	ds_read_b64_tr_b16 a[194:195], v10 offset:6400             // 000000003DC8: DBC61900 C200000A
	ds_read_b64_tr_b16 a[196:197], v11 offset:6144             // 000000003DD0: DBC61800 C400000B
	ds_read_b64_tr_b16 a[198:199], v11 offset:6400             // 000000003DD8: DBC61900 C600000B
	v_mfma_f32_16x16x32_bf16 v[30:33], a[124:127], a[52:55], v[30:33]// 000000003DE0: D3B5001E 1C7A697C
	v_mfma_f32_16x16x32_bf16 v[30:33], a[128:131], a[56:59], v[30:33]// 000000003DE8: D3B5001E 1C7A7180
	ds_read_b64_tr_b16 a[200:201], v10 offset:7168             // 000000003DF0: DBC61C00 C800000A
	ds_read_b64_tr_b16 a[202:203], v10 offset:7424             // 000000003DF8: DBC61D00 CA00000A
	ds_read_b64_tr_b16 a[204:205], v11 offset:7168             // 000000003E00: DBC61C00 CC00000B
	ds_read_b64_tr_b16 a[206:207], v11 offset:7424             // 000000003E08: DBC61D00 CE00000B
	v_mfma_f32_16x16x32_bf16 v[30:33], a[132:135], a[60:63], v[30:33]// 000000003E10: D3B5001E 1C7A7984
	v_mfma_f32_16x16x32_bf16 v[30:33], a[136:139], a[64:67], v[30:33]// 000000003E18: D3B5001E 1C7A8188
	v_mfma_f32_16x16x32_bf16 v[30:33], a[140:143], a[68:71], v[30:33]// 000000003E20: D3B5001E 1C7A898C
	s_cmp_le_i32 s83, s82                                      // 000000003E28: BF055253
	s_cbranch_scc1 label_1B24                                  // 000000003E2C: BF85003D
	v_mov_b32_e32 v22, s82                                     // 000000003E30: 7E2C0252
	s_sub_u32 s58, s81, s80                                    // 000000003E34: 80BA5051
	s_add_u32 s58, s58, s7                                     // 000000003E38: 803A073A
	v_add_u32_e32 v22, s58, v22                                // 000000003E3C: 682C2C3A
	s_sub_u32 s56, s83, 31                                     // 000000003E40: 80B89F53
	v_lshrrev_b32_e32 v162, 4, v0                              // 000000003E44: 21440084
	v_mul_i32_i24_e32 v162, 4, v162                            // 000000003E48: 0D454484
	v_add_u32_e32 v162, s56, v162                              // 000000003E4C: 69454438
	v_add_u32_e32 v163, 1, v162                                // 000000003E50: 69474481
	v_add_u32_e32 v164, 2, v162                                // 000000003E54: 69494482
	v_add_u32_e32 v165, 3, v162                                // 000000003E58: 694B4483
	v_mov_b32_e32 v23, 0xff800000                              // 000000003E5C: 7E2E02FF FF800000
	v_cmp_le_u32_e64 s[36:37], v162, v22                       // 000000003E64: D0CB0024 00022DA2
	v_add_u32_e32 v162, 16, v162                               // 000000003E6C: 69454490
	s_nop 0                                                    // 000000003E70: BF800000
	v_cndmask_b32_e64 v26, v23, v26, s[36:37]                  // 000000003E74: D100001A 00923517
	v_cmp_le_u32_e64 s[36:37], v163, v22                       // 000000003E7C: D0CB0024 00022DA3
	v_add_u32_e32 v163, 16, v163                               // 000000003E84: 69474690
	s_nop 0                                                    // 000000003E88: BF800000
	v_cndmask_b32_e64 v27, v23, v27, s[36:37]                  // 000000003E8C: D100001B 00923717
	v_cmp_le_u32_e64 s[36:37], v164, v22                       // 000000003E94: D0CB0024 00022DA4
	v_add_u32_e32 v164, 16, v164                               // 000000003E9C: 69494890
	s_nop 0                                                    // 000000003EA0: BF800000
	v_cndmask_b32_e64 v28, v23, v28, s[36:37]                  // 000000003EA4: D100001C 00923917
	v_cmp_le_u32_e64 s[36:37], v165, v22                       // 000000003EAC: D0CB0024 00022DA5
	v_add_u32_e32 v165, 16, v165                               // 000000003EB4: 694B4A90
	s_nop 0                                                    // 000000003EB8: BF800000
	v_cndmask_b32_e64 v29, v23, v29, s[36:37]                  // 000000003EBC: D100001D 00923B17
	v_cmp_le_u32_e64 s[36:37], v162, v22                       // 000000003EC4: D0CB0024 00022DA2
	v_add_u32_e32 v162, 16, v162                               // 000000003ECC: 69454490
	s_nop 0                                                    // 000000003ED0: BF800000
	v_cndmask_b32_e64 v30, v23, v30, s[36:37]                  // 000000003ED4: D100001E 00923D17
	v_cmp_le_u32_e64 s[36:37], v163, v22                       // 000000003EDC: D0CB0024 00022DA3
	v_add_u32_e32 v163, 16, v163                               // 000000003EE4: 69474690
	s_nop 0                                                    // 000000003EE8: BF800000
	v_cndmask_b32_e64 v31, v23, v31, s[36:37]                  // 000000003EEC: D100001F 00923F17
	v_cmp_le_u32_e64 s[36:37], v164, v22                       // 000000003EF4: D0CB0024 00022DA4
	v_add_u32_e32 v164, 16, v164                               // 000000003EFC: 69494890
	s_nop 0                                                    // 000000003F00: BF800000
	v_cndmask_b32_e64 v32, v23, v32, s[36:37]                  // 000000003F04: D1000020 00924117
	v_cmp_le_u32_e64 s[36:37], v165, v22                       // 000000003F0C: D0CB0024 00022DA5
	v_add_u32_e32 v165, 16, v165                               // 000000003F14: 694B4A90
	s_nop 0                                                    // 000000003F18: BF800000
	v_cndmask_b32_e64 v33, v23, v33, s[36:37]                  // 000000003F1C: D1000021 00924317

0000000000003f24 <label_1B24>:
	s_add_u32 s83, s84, s83                                    // 000000003F24: 80535354
	s_nop 2                                                    // 000000003F28: BF800002
	v_mov_b32_e32 v23, v26                                     // 000000003F2C: 7E2E031A
	v_max3_f32 v23, v26, v27, v23                              // 000000003F30: D1D30017 045E371A
	v_max3_f32 v23, v28, v29, v23                              // 000000003F38: D1D30017 045E3B1C
	v_max3_f32 v23, v30, v31, v23                              // 000000003F40: D1D30017 045E3F1E
	v_max3_f32 v23, v32, v33, v23                              // 000000003F48: D1D30017 045E4320
	v_mov_b32_e32 v22, v23                                     // 000000003F50: 7E2C0317
	v_mov_b32_e32 v23, v23                                     // 000000003F54: 7E2E0317
	s_nop 1                                                    // 000000003F58: BF800001
	v_permlane16_swap_b32_e32 v22, v23                         // 000000003F5C: 7E2CB317
	v_mov_b32_e32 v25, v22                                     // 000000003F60: 7E320316
	v_mov_b32_e32 v24, v23                                     // 000000003F64: 7E300317
	s_nop 1                                                    // 000000003F68: BF800001
	v_permlane32_swap_b32_e32 v22, v23                         // 000000003F6C: 7E2CB517
	v_permlane32_swap_b32_e32 v24, v25                         // 000000003F70: 7E30B519
	v_max3_f32 v23, v22, v23, v23                              // 000000003F74: D1D30017 045E2F16
	v_max3_f32 v23, v24, v25, v23                              // 000000003F7C: D1D30017 045E3318
	v_mov_b32_e32 v22, 0xff800000                              // 000000003F84: 7E2C02FF FF800000
	v_cmp_eq_u32_e64 s[36:37], v22, v2                         // 000000003F8C: D0CA0024 00020516
	v_max_f32_e32 v23, v23, v2                                 // 000000003F94: 162E0517
	v_sub_f32_e32 v12, v2, v23                                 // 000000003F98: 04182F02
	v_cndmask_b32_e64 v12, v12, 0, s[36:37]                    // 000000003F9C: D100000C 0091010C
	v_mov_b32_e32 v2, v23                                      // 000000003FA4: 7E040317
	v_mul_f32_e32 v23, s5, v23                                 // 000000003FA8: 0A2E2E05
	v_mul_f32_e32 v12, s5, v12                                 // 000000003FAC: 0A181805
	v_exp_f32_e32 v12, v12                                     // 000000003FB0: 7E18410C
	v_fma_f32 v26, v26, s5, -v23                               // 000000003FB4: D1CB001A 845C0B1A
	v_fma_f32 v27, v27, s5, -v23                               // 000000003FBC: D1CB001B 845C0B1B
	v_fma_f32 v28, v28, s5, -v23                               // 000000003FC4: D1CB001C 845C0B1C
	v_fma_f32 v29, v29, s5, -v23                               // 000000003FCC: D1CB001D 845C0B1D
	v_fma_f32 v30, v30, s5, -v23                               // 000000003FD4: D1CB001E 845C0B1E
	v_fma_f32 v31, v31, s5, -v23                               // 000000003FDC: D1CB001F 845C0B1F
	v_fma_f32 v32, v32, s5, -v23                               // 000000003FE4: D1CB0020 845C0B20
	v_fma_f32 v33, v33, s5, -v23                               // 000000003FEC: D1CB0021 845C0B21
	v_exp_f32_e32 v26, v26                                     // 000000003FF4: 7E34411A
	v_exp_f32_e32 v27, v27                                     // 000000003FF8: 7E36411B
	v_exp_f32_e32 v28, v28                                     // 000000003FFC: 7E38411C
	v_exp_f32_e32 v29, v29                                     // 000000004000: 7E3A411D
	v_exp_f32_e32 v30, v30                                     // 000000004004: 7E3C411E
	v_exp_f32_e32 v31, v31                                     // 000000004008: 7E3E411F
	v_exp_f32_e32 v32, v32                                     // 00000000400C: 7E404120
	v_exp_f32_e32 v33, v33                                     // 000000004010: 7E424121
	v_mul_f32_e32 v4, v12, v4                                  // 000000004014: 0A08090C
	v_mov_b32_e32 v22, v26                                     // 000000004018: 7E2C031A
	v_add_f32_e32 v22, v27, v22                                // 00000000401C: 022C2D1B
	v_add_f32_e32 v22, v28, v22                                // 000000004020: 022C2D1C
	v_add_f32_e32 v22, v29, v22                                // 000000004024: 022C2D1D
	v_add_f32_e32 v22, v30, v22                                // 000000004028: 022C2D1E
	v_add_f32_e32 v22, v31, v22                                // 00000000402C: 022C2D1F
	v_add_f32_e32 v22, v32, v22                                // 000000004030: 022C2D20
	v_add_f32_e32 v22, v33, v22                                // 000000004034: 022C2D21
	v_add_f32_e32 v4, v22, v4                                  // 000000004038: 02080916
	v_cvt_pk_bf16_f32 v26, v26, v27                            // 00000000403C: D268001A 0002371A
	v_cvt_pk_bf16_f32 v27, v28, v29                            // 000000004044: D268001B 00023B1C
	v_cvt_pk_bf16_f32 v28, v30, v31                            // 00000000404C: D268001C 00023F1E
	v_cvt_pk_bf16_f32 v29, v32, v33                            // 000000004054: D268001D 00024320
	s_nop 0                                                    // 00000000405C: BF800000
	v_permlane32_swap_b32_e32 v26, v28                         // 000000004060: 7E34B51C
	v_permlane32_swap_b32_e32 v27, v29                         // 000000004064: 7E36B51D
	s_nop 0                                                    // 000000004068: BF800000
	v_permlane16_swap_b32_e32 v26, v28                         // 00000000406C: 7E34B31C
	v_permlane16_swap_b32_e32 v27, v29                         // 000000004070: 7E36B31D
	v_mul_f32_e32 v34, v12, v34                                // 000000004074: 0A44450C
	v_mul_f32_e32 v35, v12, v35                                // 000000004078: 0A46470C
	v_mul_f32_e32 v36, v12, v36                                // 00000000407C: 0A48490C
	v_mul_f32_e32 v37, v12, v37                                // 000000004080: 0A4A4B0C
	v_mul_f32_e32 v38, v12, v38                                // 000000004084: 0A4C4D0C
	v_mul_f32_e32 v39, v12, v39                                // 000000004088: 0A4E4F0C
	v_mul_f32_e32 v40, v12, v40                                // 00000000408C: 0A50510C
	v_mul_f32_e32 v41, v12, v41                                // 000000004090: 0A52530C
	v_mul_f32_e32 v42, v12, v42                                // 000000004094: 0A54550C
	v_mul_f32_e32 v43, v12, v43                                // 000000004098: 0A56570C
	v_mul_f32_e32 v44, v12, v44                                // 00000000409C: 0A58590C
	v_mul_f32_e32 v45, v12, v45                                // 0000000040A0: 0A5A5B0C
	v_mul_f32_e32 v46, v12, v46                                // 0000000040A4: 0A5C5D0C
	v_mul_f32_e32 v47, v12, v47                                // 0000000040A8: 0A5E5F0C
	v_mul_f32_e32 v48, v12, v48                                // 0000000040AC: 0A60610C
	v_mul_f32_e32 v49, v12, v49                                // 0000000040B0: 0A62630C
	v_mul_f32_e32 v50, v12, v50                                // 0000000040B4: 0A64650C
	v_mul_f32_e32 v51, v12, v51                                // 0000000040B8: 0A66670C
	v_mul_f32_e32 v52, v12, v52                                // 0000000040BC: 0A68690C
	v_mul_f32_e32 v53, v12, v53                                // 0000000040C0: 0A6A6B0C
	v_mul_f32_e32 v54, v12, v54                                // 0000000040C4: 0A6C6D0C
	v_mul_f32_e32 v55, v12, v55                                // 0000000040C8: 0A6E6F0C
	v_mul_f32_e32 v56, v12, v56                                // 0000000040CC: 0A70710C
	v_mul_f32_e32 v57, v12, v57                                // 0000000040D0: 0A72730C
	v_mul_f32_e32 v58, v12, v58                                // 0000000040D4: 0A74750C
	v_mul_f32_e32 v59, v12, v59                                // 0000000040D8: 0A76770C
	v_mul_f32_e32 v60, v12, v60                                // 0000000040DC: 0A78790C
	v_mul_f32_e32 v61, v12, v61                                // 0000000040E0: 0A7A7B0C
	v_mul_f32_e32 v62, v12, v62                                // 0000000040E4: 0A7C7D0C
	v_mul_f32_e32 v63, v12, v63                                // 0000000040E8: 0A7E7F0C
	v_mul_f32_e32 v64, v12, v64                                // 0000000040EC: 0A80810C
	v_mul_f32_e32 v65, v12, v65                                // 0000000040F0: 0A82830C
	v_mul_f32_e32 v66, v12, v66                                // 0000000040F4: 0A84850C
	v_mul_f32_e32 v67, v12, v67                                // 0000000040F8: 0A86870C
	v_mul_f32_e32 v68, v12, v68                                // 0000000040FC: 0A88890C
	v_mul_f32_e32 v69, v12, v69                                // 000000004100: 0A8A8B0C
	v_mul_f32_e32 v70, v12, v70                                // 000000004104: 0A8C8D0C
	v_mul_f32_e32 v71, v12, v71                                // 000000004108: 0A8E8F0C
	v_mul_f32_e32 v72, v12, v72                                // 00000000410C: 0A90910C
	v_mul_f32_e32 v73, v12, v73                                // 000000004110: 0A92930C
	v_mul_f32_e32 v74, v12, v74                                // 000000004114: 0A94950C
	v_mul_f32_e32 v75, v12, v75                                // 000000004118: 0A96970C
	v_mul_f32_e32 v76, v12, v76                                // 00000000411C: 0A98990C
	v_mul_f32_e32 v77, v12, v77                                // 000000004120: 0A9A9B0C
	v_mul_f32_e32 v78, v12, v78                                // 000000004124: 0A9C9D0C
	v_mul_f32_e32 v79, v12, v79                                // 000000004128: 0A9E9F0C
	v_mul_f32_e32 v80, v12, v80                                // 00000000412C: 0AA0A10C
	v_mul_f32_e32 v81, v12, v81                                // 000000004130: 0AA2A30C
	v_mul_f32_e32 v82, v12, v82                                // 000000004134: 0AA4A50C
	v_mul_f32_e32 v83, v12, v83                                // 000000004138: 0AA6A70C
	v_mul_f32_e32 v84, v12, v84                                // 00000000413C: 0AA8A90C
	v_mul_f32_e32 v85, v12, v85                                // 000000004140: 0AAAAB0C
	v_mul_f32_e32 v86, v12, v86                                // 000000004144: 0AACAD0C
	v_mul_f32_e32 v87, v12, v87                                // 000000004148: 0AAEAF0C
	v_mul_f32_e32 v88, v12, v88                                // 00000000414C: 0AB0B10C
	v_mul_f32_e32 v89, v12, v89                                // 000000004150: 0AB2B30C
	v_mul_f32_e32 v90, v12, v90                                // 000000004154: 0AB4B50C
	v_mul_f32_e32 v91, v12, v91                                // 000000004158: 0AB6B70C
	v_mul_f32_e32 v92, v12, v92                                // 00000000415C: 0AB8B90C
	v_mul_f32_e32 v93, v12, v93                                // 000000004160: 0ABABB0C
	v_mul_f32_e32 v94, v12, v94                                // 000000004164: 0ABCBD0C
	v_mul_f32_e32 v95, v12, v95                                // 000000004168: 0ABEBF0C
	v_mul_f32_e32 v96, v12, v96                                // 00000000416C: 0AC0C10C
	v_mul_f32_e32 v97, v12, v97                                // 000000004170: 0AC2C30C
	v_mul_f32_e32 v98, v12, v98                                // 000000004174: 0AC4C50C
	v_mul_f32_e32 v99, v12, v99                                // 000000004178: 0AC6C70C
	v_mul_f32_e32 v100, v12, v100                              // 00000000417C: 0AC8C90C
	v_mul_f32_e32 v101, v12, v101                              // 000000004180: 0ACACB0C
	v_mul_f32_e32 v102, v12, v102                              // 000000004184: 0ACCCD0C
	v_mul_f32_e32 v103, v12, v103                              // 000000004188: 0ACECF0C
	v_mul_f32_e32 v104, v12, v104                              // 00000000418C: 0AD0D10C
	v_mul_f32_e32 v105, v12, v105                              // 000000004190: 0AD2D30C
	v_mul_f32_e32 v106, v12, v106                              // 000000004194: 0AD4D50C
	v_mul_f32_e32 v107, v12, v107                              // 000000004198: 0AD6D70C
	v_mul_f32_e32 v108, v12, v108                              // 00000000419C: 0AD8D90C
	v_mul_f32_e32 v109, v12, v109                              // 0000000041A0: 0ADADB0C
	v_mul_f32_e32 v110, v12, v110                              // 0000000041A4: 0ADCDD0C
	v_mul_f32_e32 v111, v12, v111                              // 0000000041A8: 0ADEDF0C
	v_mul_f32_e32 v112, v12, v112                              // 0000000041AC: 0AE0E10C
	v_mul_f32_e32 v113, v12, v113                              // 0000000041B0: 0AE2E30C
	v_mul_f32_e32 v114, v12, v114                              // 0000000041B4: 0AE4E50C
	v_mul_f32_e32 v115, v12, v115                              // 0000000041B8: 0AE6E70C
	v_mul_f32_e32 v116, v12, v116                              // 0000000041BC: 0AE8E90C
	v_mul_f32_e32 v117, v12, v117                              // 0000000041C0: 0AEAEB0C
	v_mul_f32_e32 v118, v12, v118                              // 0000000041C4: 0AECED0C
	v_mul_f32_e32 v119, v12, v119                              // 0000000041C8: 0AEEEF0C
	v_mul_f32_e32 v120, v12, v120                              // 0000000041CC: 0AF0F10C
	v_mul_f32_e32 v121, v12, v121                              // 0000000041D0: 0AF2F30C
	v_mul_f32_e32 v122, v12, v122                              // 0000000041D4: 0AF4F50C
	v_mul_f32_e32 v123, v12, v123                              // 0000000041D8: 0AF6F70C
	v_mul_f32_e32 v124, v12, v124                              // 0000000041DC: 0AF8F90C
	v_mul_f32_e32 v125, v12, v125                              // 0000000041E0: 0AFAFB0C
	v_mul_f32_e32 v126, v12, v126                              // 0000000041E4: 0AFCFD0C
	v_mul_f32_e32 v127, v12, v127                              // 0000000041E8: 0AFEFF0C
	v_mul_f32_e32 v128, v12, v128                              // 0000000041EC: 0B01010C
	v_mul_f32_e32 v129, v12, v129                              // 0000000041F0: 0B03030C
	v_mul_f32_e32 v130, v12, v130                              // 0000000041F4: 0B05050C
	v_mul_f32_e32 v131, v12, v131                              // 0000000041F8: 0B07070C
	v_mul_f32_e32 v132, v12, v132                              // 0000000041FC: 0B09090C
	v_mul_f32_e32 v133, v12, v133                              // 000000004200: 0B0B0B0C
	v_mul_f32_e32 v134, v12, v134                              // 000000004204: 0B0D0D0C
	v_mul_f32_e32 v135, v12, v135                              // 000000004208: 0B0F0F0C
	v_mul_f32_e32 v136, v12, v136                              // 00000000420C: 0B11110C
	v_mul_f32_e32 v137, v12, v137                              // 000000004210: 0B13130C
	v_mul_f32_e32 v138, v12, v138                              // 000000004214: 0B15150C
	v_mul_f32_e32 v139, v12, v139                              // 000000004218: 0B17170C
	v_mul_f32_e32 v140, v12, v140                              // 00000000421C: 0B19190C
	v_mul_f32_e32 v141, v12, v141                              // 000000004220: 0B1B1B0C
	v_mul_f32_e32 v142, v12, v142                              // 000000004224: 0B1D1D0C
	v_mul_f32_e32 v143, v12, v143                              // 000000004228: 0B1F1F0C
	v_mul_f32_e32 v144, v12, v144                              // 00000000422C: 0B21210C
	v_mul_f32_e32 v145, v12, v145                              // 000000004230: 0B23230C
	v_mul_f32_e32 v146, v12, v146                              // 000000004234: 0B25250C
	v_mul_f32_e32 v147, v12, v147                              // 000000004238: 0B27270C
	v_mul_f32_e32 v148, v12, v148                              // 00000000423C: 0B29290C
	v_mul_f32_e32 v149, v12, v149                              // 000000004240: 0B2B2B0C
	v_mul_f32_e32 v150, v12, v150                              // 000000004244: 0B2D2D0C
	v_mul_f32_e32 v151, v12, v151                              // 000000004248: 0B2F2F0C
	v_mul_f32_e32 v152, v12, v152                              // 00000000424C: 0B31310C
	v_mul_f32_e32 v153, v12, v153                              // 000000004250: 0B33330C
	v_mul_f32_e32 v154, v12, v154                              // 000000004254: 0B35350C
	v_mul_f32_e32 v155, v12, v155                              // 000000004258: 0B37370C
	v_mul_f32_e32 v156, v12, v156                              // 00000000425C: 0B39390C
	v_mul_f32_e32 v157, v12, v157                              // 000000004260: 0B3B3B0C
	v_mul_f32_e32 v158, v12, v158                              // 000000004264: 0B3D3D0C
	v_mul_f32_e32 v159, v12, v159                              // 000000004268: 0B3F3F0C
	v_mul_f32_e32 v160, v12, v160                              // 00000000426C: 0B41410C
	v_mul_f32_e32 v161, v12, v161                              // 000000004270: 0B43430C
	s_waitcnt lgkmcnt(0)                                       // 000000004274: BF8CC07F
	v_mfma_f32_16x16x32_bf16 v[34:37], a[144:147], v[26:29], v[34:37]// 000000004278: D3B50022 0C8A3590
	v_mfma_f32_16x16x32_bf16 v[38:41], a[148:151], v[26:29], v[38:41]// 000000004280: D3B50026 0C9A3594
	v_mfma_f32_16x16x32_bf16 v[42:45], a[152:155], v[26:29], v[42:45]// 000000004288: D3B5002A 0CAA3598
	v_mfma_f32_16x16x32_bf16 v[46:49], a[156:159], v[26:29], v[46:49]// 000000004290: D3B5002E 0CBA359C
	v_mfma_f32_16x16x32_bf16 v[50:53], a[160:163], v[26:29], v[50:53]// 000000004298: D3B50032 0CCA35A0
	v_mfma_f32_16x16x32_bf16 v[54:57], a[164:167], v[26:29], v[54:57]// 0000000042A0: D3B50036 0CDA35A4
	v_mfma_f32_16x16x32_bf16 v[58:61], a[168:171], v[26:29], v[58:61]// 0000000042A8: D3B5003A 0CEA35A8
	v_mfma_f32_16x16x32_bf16 v[62:65], a[172:175], v[26:29], v[62:65]// 0000000042B0: D3B5003E 0CFA35AC
	v_mfma_f32_16x16x32_bf16 v[66:69], a[176:179], v[26:29], v[66:69]// 0000000042B8: D3B50042 0D0A35B0
	v_mfma_f32_16x16x32_bf16 v[70:73], a[180:183], v[26:29], v[70:73]// 0000000042C0: D3B50046 0D1A35B4
	v_mfma_f32_16x16x32_bf16 v[74:77], a[184:187], v[26:29], v[74:77]// 0000000042C8: D3B5004A 0D2A35B8
	ds_read_b64_tr_b16 a[144:145], v10 offset:8192             // 0000000042D0: DBC62000 9000000A
	ds_read_b64_tr_b16 a[146:147], v10 offset:8448             // 0000000042D8: DBC62100 9200000A
	ds_read_b64_tr_b16 a[148:149], v11 offset:8192             // 0000000042E0: DBC62000 9400000B
	ds_read_b64_tr_b16 a[150:151], v11 offset:8448             // 0000000042E8: DBC62100 9600000B
	v_mfma_f32_16x16x32_bf16 v[78:81], a[188:191], v[26:29], v[78:81]// 0000000042F0: D3B5004E 0D3A35BC
	ds_read_b64_tr_b16 a[152:153], v10 offset:9216             // 0000000042F8: DBC62400 9800000A
	ds_read_b64_tr_b16 a[154:155], v10 offset:9472             // 000000004300: DBC62500 9A00000A
	ds_read_b64_tr_b16 a[156:157], v11 offset:9216             // 000000004308: DBC62400 9C00000B
	ds_read_b64_tr_b16 a[158:159], v11 offset:9472             // 000000004310: DBC62500 9E00000B
	v_mfma_f32_16x16x32_bf16 v[82:85], a[192:195], v[26:29], v[82:85]// 000000004318: D3B50052 0D4A35C0
	ds_read_b64_tr_b16 a[160:161], v10 offset:10240            // 000000004320: DBC62800 A000000A
	ds_read_b64_tr_b16 a[162:163], v10 offset:10496            // 000000004328: DBC62900 A200000A
	ds_read_b64_tr_b16 a[164:165], v11 offset:10240            // 000000004330: DBC62800 A400000B
	ds_read_b64_tr_b16 a[166:167], v11 offset:10496            // 000000004338: DBC62900 A600000B
	v_mfma_f32_16x16x32_bf16 v[86:89], a[196:199], v[26:29], v[86:89]// 000000004340: D3B50056 0D5A35C4
	ds_read_b64_tr_b16 a[168:169], v10 offset:11264            // 000000004348: DBC62C00 A800000A
	ds_read_b64_tr_b16 a[170:171], v10 offset:11520            // 000000004350: DBC62D00 AA00000A
	ds_read_b64_tr_b16 a[172:173], v11 offset:11264            // 000000004358: DBC62C00 AC00000B
	ds_read_b64_tr_b16 a[174:175], v11 offset:11520            // 000000004360: DBC62D00 AE00000B
	v_mfma_f32_16x16x32_bf16 v[90:93], a[200:203], v[26:29], v[90:93]// 000000004368: D3B5005A 0D6A35C8
	ds_read_b64_tr_b16 a[176:177], v10 offset:12288            // 000000004370: DBC63000 B000000A
	ds_read_b64_tr_b16 a[178:179], v10 offset:12544            // 000000004378: DBC63100 B200000A
	ds_read_b64_tr_b16 a[180:181], v11 offset:12288            // 000000004380: DBC63000 B400000B
	ds_read_b64_tr_b16 a[182:183], v11 offset:12544            // 000000004388: DBC63100 B600000B
	v_mfma_f32_16x16x32_bf16 v[94:97], a[204:207], v[26:29], v[94:97]// 000000004390: D3B5005E 0D7A35CC
	ds_read_b64_tr_b16 a[184:185], v10 offset:13312            // 000000004398: DBC63400 B800000A
	ds_read_b64_tr_b16 a[186:187], v10 offset:13568            // 0000000043A0: DBC63500 BA00000A
	ds_read_b64_tr_b16 a[188:189], v11 offset:13312            // 0000000043A8: DBC63400 BC00000B
	ds_read_b64_tr_b16 a[190:191], v11 offset:13568            // 0000000043B0: DBC63500 BE00000B
	ds_read_b64_tr_b16 a[192:193], v10 offset:14336            // 0000000043B8: DBC63800 C000000A
	ds_read_b64_tr_b16 a[194:195], v10 offset:14592            // 0000000043C0: DBC63900 C200000A
	ds_read_b64_tr_b16 a[196:197], v11 offset:14336            // 0000000043C8: DBC63800 C400000B
	ds_read_b64_tr_b16 a[198:199], v11 offset:14592            // 0000000043D0: DBC63900 C600000B
	ds_read_b64_tr_b16 a[200:201], v10 offset:15360            // 0000000043D8: DBC63C00 C800000A
	ds_read_b64_tr_b16 a[202:203], v10 offset:15616            // 0000000043E0: DBC63D00 CA00000A
	ds_read_b64_tr_b16 a[204:205], v11 offset:15360            // 0000000043E8: DBC63C00 CC00000B
	ds_read_b64_tr_b16 a[206:207], v11 offset:15616            // 0000000043F0: DBC63D00 CE00000B
	s_waitcnt lgkmcnt(0)                                       // 0000000043F8: BF8CC07F
	v_mfma_f32_16x16x32_bf16 v[98:101], a[144:147], v[26:29], v[98:101]// 0000000043FC: D3B50062 0D8A3590
	v_mfma_f32_16x16x32_bf16 v[102:105], a[148:151], v[26:29], v[102:105]// 000000004404: D3B50066 0D9A3594
	v_mfma_f32_16x16x32_bf16 v[106:109], a[152:155], v[26:29], v[106:109]// 00000000440C: D3B5006A 0DAA3598
	v_mfma_f32_16x16x32_bf16 v[110:113], a[156:159], v[26:29], v[110:113]// 000000004414: D3B5006E 0DBA359C
	v_mfma_f32_16x16x32_bf16 v[114:117], a[160:163], v[26:29], v[114:117]// 00000000441C: D3B50072 0DCA35A0
	s_waitcnt vmcnt(10)                                        // 000000004424: BF8C0F7A
	s_barrier                                                  // 000000004428: BF8A0000
	ds_read_b128 a[72:75], v14                                 // 00000000442C: DBFE0000 4800000E
	v_mfma_f32_16x16x32_bf16 v[118:121], a[164:167], v[26:29], v[118:121]// 000000004434: D3B50076 0DDA35A4
	ds_read_b128 a[76:79], v14 offset:1024                     // 00000000443C: DBFE0400 4C00000E
	v_mfma_f32_16x16x32_bf16 v[122:125], a[168:171], v[26:29], v[122:125]// 000000004444: D3B5007A 0DEA35A8
	ds_read_b128 a[80:83], v14 offset:2048                     // 00000000444C: DBFE0800 5000000E
	v_mfma_f32_16x16x32_bf16 v[126:129], a[172:175], v[26:29], v[126:129]// 000000004454: D3B5007E 0DFA35AC
	ds_read_b128 a[84:87], v14 offset:3072                     // 00000000445C: DBFE0C00 5400000E
	v_mfma_f32_16x16x32_bf16 v[130:133], a[176:179], v[26:29], v[130:133]// 000000004464: D3B50082 0E0A35B0
	ds_read_b128 a[88:91], v14 offset:4096                     // 00000000446C: DBFE1000 5800000E
	v_mfma_f32_16x16x32_bf16 v[134:137], a[180:183], v[26:29], v[134:137]// 000000004474: D3B50086 0E1A35B4
	ds_read_b128 a[92:95], v14 offset:5120                     // 00000000447C: DBFE1400 5C00000E
	v_mfma_f32_16x16x32_bf16 v[138:141], a[184:187], v[26:29], v[138:141]// 000000004484: D3B5008A 0E2A35B8
	ds_read_b128 a[96:99], v14 offset:6144                     // 00000000448C: DBFE1800 6000000E
	v_mfma_f32_16x16x32_bf16 v[142:145], a[188:191], v[26:29], v[142:145]// 000000004494: D3B5008E 0E3A35BC
	ds_read_b128 a[100:103], v14 offset:7168                   // 00000000449C: DBFE1C00 6400000E
	v_mfma_f32_16x16x32_bf16 v[146:149], a[192:195], v[26:29], v[146:149]// 0000000044A4: D3B50092 0E4A35C0
	ds_read_b128 a[104:107], v14 offset:8192                   // 0000000044AC: DBFE2000 6800000E
	v_mfma_f32_16x16x32_bf16 v[150:153], a[196:199], v[26:29], v[150:153]// 0000000044B4: D3B50096 0E5A35C4
	ds_read_b128 a[108:111], v14 offset:9216                   // 0000000044BC: DBFE2400 6C00000E
	v_mfma_f32_16x16x32_bf16 v[154:157], a[200:203], v[26:29], v[154:157]// 0000000044C4: D3B5009A 0E6A35C8
	ds_read_b128 a[112:115], v14 offset:10240                  // 0000000044CC: DBFE2800 7000000E
	v_mfma_f32_16x16x32_bf16 v[158:161], a[204:207], v[26:29], v[158:161]// 0000000044D4: D3B5009E 0E7A35CC
	ds_read_b128 a[116:119], v14 offset:11264                  // 0000000044DC: DBFE2C00 7400000E
	ds_read_b128 a[120:123], v14 offset:12288                  // 0000000044E4: DBFE3000 7800000E
	ds_read_b128 a[124:127], v14 offset:13312                  // 0000000044EC: DBFE3400 7C00000E
	ds_read_b128 a[128:131], v14 offset:14336                  // 0000000044F4: DBFE3800 8000000E
	ds_read_b128 a[132:135], v14 offset:15360                  // 0000000044FC: DBFE3C00 8400000E
	ds_read_b128 a[136:139], v14 offset:16384                  // 000000004504: DBFE4000 8800000E
	ds_read_b128 a[140:143], v14 offset:17408                  // 00000000450C: DBFE4400 8C00000E
	s_addk_i32 s70, 0x1                                        // 000000004514: B7460001
	s_cmp_lt_i32 s70, s71                                      // 000000004518: BF044746
	s_cbranch_scc0 label_2B90                                  // 00000000451C: BF84029C
	s_waitcnt lgkmcnt(4)                                       // 000000004520: BF8CC47F
	v_mfma_f32_16x16x32_bf16 v[26:29], a[72:75], a[0:3], 0     // 000000004524: D3B5001A 1A020148
	v_mul_u32_u24_e64 v25, v18, s68                            // 00000000452C: D1080019 00008912
	v_add_u32_e32 v25, v25, v1                                 // 000000004534: 68320319
	buffer_load_dword v17, v21, s[24:27], 0 offen              // 000000004538: E0501000 80061115
	ds_read_b128 a[72:75], v14 offset:18432                    // 000000004540: DBFE4800 4800000E
	v_mfma_f32_16x16x32_bf16 v[26:29], a[76:79], a[4:7], v[26:29]// 000000004548: D3B5001A 1C6A094C
	s_mov_b32 s56, 0x1d000                                     // 000000004550: BEB800FF 0001D000
	s_mul_i32 s57, s7, 0x2400                                  // 000000004558: 9239FF07 00002400
	s_add_u32 m0, s56, s57                                     // 000000004560: 807C3938
	buffer_load_dwordx4 v25, s[20:23], 0 offen lds             // 000000004564: E05D1000 80050019
	s_add_i32 m0, m0, 0x3c0                                    // 00000000456C: 817CFF7C 000003C0
	v_mfma_f32_16x16x32_bf16 v[26:29], a[80:83], a[8:11], v[26:29]// 000000004574: D3B5001A 1C6A1150
	ds_read_b128 a[76:79], v14 offset:19456                    // 00000000457C: DBFE4C00 4C00000E
	v_mfma_f32_16x16x32_bf16 v[26:29], a[84:87], a[12:15], v[26:29]// 000000004584: D3B5001A 1C6A1954
	buffer_load_dwordx4 v25, s[20:23], 0 offen offset:64 lds   // 00000000458C: E05D1040 80050019
	s_add_i32 m0, m0, 0x3c0                                    // 000000004594: 817CFF7C 000003C0
	v_mfma_f32_16x16x32_bf16 v[26:29], a[88:91], a[16:19], v[26:29]// 00000000459C: D3B5001A 1C6A2158
	ds_read_b128 a[80:83], v14 offset:20480                    // 0000000045A4: DBFE5000 5000000E
	v_mfma_f32_16x16x32_bf16 v[26:29], a[92:95], a[20:23], v[26:29]// 0000000045AC: D3B5001A 1C6A295C
	buffer_load_dwordx4 v25, s[20:23], 0 offen offset:128 lds  // 0000000045B4: E05D1080 80050019
	s_add_i32 m0, m0, 0x3c0                                    // 0000000045BC: 817CFF7C 000003C0
	v_mfma_f32_16x16x32_bf16 v[26:29], a[96:99], a[24:27], v[26:29]// 0000000045C4: D3B5001A 1C6A3160
	ds_read_b128 a[84:87], v14 offset:21504                    // 0000000045CC: DBFE5400 5400000E
	v_mfma_f32_16x16x32_bf16 v[26:29], a[100:103], a[28:31], v[26:29]// 0000000045D4: D3B5001A 1C6A3964
	buffer_load_dwordx4 v25, s[20:23], 0 offen offset:192 lds  // 0000000045DC: E05D10C0 80050019
	s_add_i32 m0, m0, 0x3c0                                    // 0000000045E4: 817CFF7C 000003C0
	v_mfma_f32_16x16x32_bf16 v[26:29], a[104:107], a[32:35], v[26:29]// 0000000045EC: D3B5001A 1C6A4168
	ds_read_b128 a[88:91], v14 offset:22528                    // 0000000045F4: DBFE5800 5800000E
	v_mfma_f32_16x16x32_bf16 v[26:29], a[108:111], a[36:39], v[26:29]// 0000000045FC: D3B5001A 1C6A496C
	buffer_load_dwordx4 v25, s[20:23], 0 offen offset:256 lds  // 000000004604: E05D1100 80050019
	s_add_i32 m0, m0, 0x3c0                                    // 00000000460C: 817CFF7C 000003C0
	v_mfma_f32_16x16x32_bf16 v[26:29], a[112:115], a[40:43], v[26:29]// 000000004614: D3B5001A 1C6A5170
	ds_read_b128 a[92:95], v14 offset:23552                    // 00000000461C: DBFE5C00 5C00000E
	v_mfma_f32_16x16x32_bf16 v[26:29], a[116:119], a[44:47], v[26:29]// 000000004624: D3B5001A 1C6A5974
	buffer_load_dwordx4 v25, s[20:23], 0 offen offset:320 lds  // 00000000462C: E05D1140 80050019
	s_add_i32 m0, m0, 0x3c0                                    // 000000004634: 817CFF7C 000003C0
	v_mfma_f32_16x16x32_bf16 v[26:29], a[120:123], a[48:51], v[26:29]// 00000000463C: D3B5001A 1C6A6178
	ds_read_b128 a[96:99], v14 offset:24576                    // 000000004644: DBFE6000 6000000E
	v_mfma_f32_16x16x32_bf16 v[26:29], a[124:127], a[52:55], v[26:29]// 00000000464C: D3B5001A 1C6A697C
	buffer_load_dwordx4 v25, s[20:23], 0 offen offset:384 lds  // 000000004654: E05D1180 80050019
	s_add_i32 m0, m0, 0x3c0                                    // 00000000465C: 817CFF7C 000003C0
	v_mfma_f32_16x16x32_bf16 v[26:29], a[128:131], a[56:59], v[26:29]// 000000004664: D3B5001A 1C6A7180
	ds_read_b128 a[100:103], v14 offset:25600                  // 00000000466C: DBFE6400 6400000E
	v_mfma_f32_16x16x32_bf16 v[26:29], a[132:135], a[60:63], v[26:29]// 000000004674: D3B5001A 1C6A7984
	buffer_load_dwordx4 v25, s[20:23], 0 offen offset:448 lds  // 00000000467C: E05D11C0 80050019
	s_add_i32 m0, m0, 0x3c0                                    // 000000004684: 817CFF7C 000003C0
	v_mfma_f32_16x16x32_bf16 v[26:29], a[136:139], a[64:67], v[26:29]// 00000000468C: D3B5001A 1C6A8188
	ds_read_b128 a[104:107], v14 offset:26624                  // 000000004694: DBFE6800 6800000E
	v_mfma_f32_16x16x32_bf16 v[26:29], a[140:143], a[68:71], v[26:29]// 00000000469C: D3B5001A 1C6A898C
	buffer_load_dwordx4 v25, s[20:23], 0 offen offset:512 lds  // 0000000046A4: E05D1200 80050019
	s_add_i32 m0, m0, 0x3c0                                    // 0000000046AC: 817CFF7C 000003C0
	ds_read_b128 a[108:111], v14 offset:27648                  // 0000000046B4: DBFE6C00 6C00000E
	ds_read_b128 a[112:115], v14 offset:28672                  // 0000000046BC: DBFE7000 7000000E
	ds_read_b128 a[116:119], v14 offset:29696                  // 0000000046C4: DBFE7400 7400000E
	ds_read_b128 a[120:123], v14 offset:30720                  // 0000000046CC: DBFE7800 7800000E
	ds_read_b128 a[124:127], v14 offset:31744                  // 0000000046D4: DBFE7C00 7C00000E
	ds_read_b128 a[128:131], v14 offset:32768                  // 0000000046DC: DBFE8000 8000000E
	ds_read_b128 a[132:135], v14 offset:33792                  // 0000000046E4: DBFE8400 8400000E
	ds_read_b128 a[136:139], v14 offset:34816                  // 0000000046EC: DBFE8800 8800000E
	ds_read_b128 a[140:143], v14 offset:35840                  // 0000000046F4: DBFE8C00 8C00000E
	v_add_u32_e32 v21, s73, v21                                // 0000000046FC: 682A2A49
	s_waitcnt lgkmcnt(4)                                       // 000000004700: BF8CC47F
	v_mfma_f32_16x16x32_bf16 v[30:33], a[72:75], a[0:3], 0     // 000000004704: D3B5001E 1A020148
	ds_read_b64_tr_b16 a[144:145], v6                          // 00000000470C: DBC60000 90000006
	ds_read_b64_tr_b16 a[146:147], v6 offset:256               // 000000004714: DBC60100 92000006
	ds_read_b64_tr_b16 a[148:149], v7                          // 00000000471C: DBC60000 94000007
	ds_read_b64_tr_b16 a[150:151], v7 offset:256               // 000000004724: DBC60100 96000007
	v_mfma_f32_16x16x32_bf16 v[30:33], a[76:79], a[4:7], v[30:33]// 00000000472C: D3B5001E 1C7A094C
	v_mfma_f32_16x16x32_bf16 v[30:33], a[80:83], a[8:11], v[30:33]// 000000004734: D3B5001E 1C7A1150
	ds_read_b64_tr_b16 a[152:153], v6 offset:1024              // 00000000473C: DBC60400 98000006
	ds_read_b64_tr_b16 a[154:155], v6 offset:1280              // 000000004744: DBC60500 9A000006
	ds_read_b64_tr_b16 a[156:157], v7 offset:1024              // 00000000474C: DBC60400 9C000007
	ds_read_b64_tr_b16 a[158:159], v7 offset:1280              // 000000004754: DBC60500 9E000007
	v_mfma_f32_16x16x32_bf16 v[30:33], a[84:87], a[12:15], v[30:33]// 00000000475C: D3B5001E 1C7A1954
	v_mfma_f32_16x16x32_bf16 v[30:33], a[88:91], a[16:19], v[30:33]// 000000004764: D3B5001E 1C7A2158
	ds_read_b64_tr_b16 a[160:161], v6 offset:2048              // 00000000476C: DBC60800 A0000006
	ds_read_b64_tr_b16 a[162:163], v6 offset:2304              // 000000004774: DBC60900 A2000006
	ds_read_b64_tr_b16 a[164:165], v7 offset:2048              // 00000000477C: DBC60800 A4000007
	ds_read_b64_tr_b16 a[166:167], v7 offset:2304              // 000000004784: DBC60900 A6000007
	v_mfma_f32_16x16x32_bf16 v[30:33], a[92:95], a[20:23], v[30:33]// 00000000478C: D3B5001E 1C7A295C
	v_mfma_f32_16x16x32_bf16 v[30:33], a[96:99], a[24:27], v[30:33]// 000000004794: D3B5001E 1C7A3160
	ds_read_b64_tr_b16 a[168:169], v6 offset:3072              // 00000000479C: DBC60C00 A8000006
	ds_read_b64_tr_b16 a[170:171], v6 offset:3328              // 0000000047A4: DBC60D00 AA000006
	ds_read_b64_tr_b16 a[172:173], v7 offset:3072              // 0000000047AC: DBC60C00 AC000007
	ds_read_b64_tr_b16 a[174:175], v7 offset:3328              // 0000000047B4: DBC60D00 AE000007
	v_mfma_f32_16x16x32_bf16 v[30:33], a[100:103], a[28:31], v[30:33]// 0000000047BC: D3B5001E 1C7A3964
	v_mfma_f32_16x16x32_bf16 v[30:33], a[104:107], a[32:35], v[30:33]// 0000000047C4: D3B5001E 1C7A4168
	ds_read_b64_tr_b16 a[176:177], v6 offset:4096              // 0000000047CC: DBC61000 B0000006
	ds_read_b64_tr_b16 a[178:179], v6 offset:4352              // 0000000047D4: DBC61100 B2000006
	ds_read_b64_tr_b16 a[180:181], v7 offset:4096              // 0000000047DC: DBC61000 B4000007
	ds_read_b64_tr_b16 a[182:183], v7 offset:4352              // 0000000047E4: DBC61100 B6000007
	v_mfma_f32_16x16x32_bf16 v[30:33], a[108:111], a[36:39], v[30:33]// 0000000047EC: D3B5001E 1C7A496C
	v_mfma_f32_16x16x32_bf16 v[30:33], a[112:115], a[40:43], v[30:33]// 0000000047F4: D3B5001E 1C7A5170
	ds_read_b64_tr_b16 a[184:185], v6 offset:5120              // 0000000047FC: DBC61400 B8000006
	ds_read_b64_tr_b16 a[186:187], v6 offset:5376              // 000000004804: DBC61500 BA000006
	ds_read_b64_tr_b16 a[188:189], v7 offset:5120              // 00000000480C: DBC61400 BC000007
	ds_read_b64_tr_b16 a[190:191], v7 offset:5376              // 000000004814: DBC61500 BE000007
	v_mfma_f32_16x16x32_bf16 v[30:33], a[116:119], a[44:47], v[30:33]// 00000000481C: D3B5001E 1C7A5974
	v_mfma_f32_16x16x32_bf16 v[30:33], a[120:123], a[48:51], v[30:33]// 000000004824: D3B5001E 1C7A6178
	ds_read_b64_tr_b16 a[192:193], v6 offset:6144              // 00000000482C: DBC61800 C0000006
	ds_read_b64_tr_b16 a[194:195], v6 offset:6400              // 000000004834: DBC61900 C2000006
	ds_read_b64_tr_b16 a[196:197], v7 offset:6144              // 00000000483C: DBC61800 C4000007
	ds_read_b64_tr_b16 a[198:199], v7 offset:6400              // 000000004844: DBC61900 C6000007
	v_mfma_f32_16x16x32_bf16 v[30:33], a[124:127], a[52:55], v[30:33]// 00000000484C: D3B5001E 1C7A697C
	v_mfma_f32_16x16x32_bf16 v[30:33], a[128:131], a[56:59], v[30:33]// 000000004854: D3B5001E 1C7A7180
	ds_read_b64_tr_b16 a[200:201], v6 offset:7168              // 00000000485C: DBC61C00 C8000006
	ds_read_b64_tr_b16 a[202:203], v6 offset:7424              // 000000004864: DBC61D00 CA000006
	ds_read_b64_tr_b16 a[204:205], v7 offset:7168              // 00000000486C: DBC61C00 CC000007
	ds_read_b64_tr_b16 a[206:207], v7 offset:7424              // 000000004874: DBC61D00 CE000007
	v_mfma_f32_16x16x32_bf16 v[30:33], a[132:135], a[60:63], v[30:33]// 00000000487C: D3B5001E 1C7A7984
	v_mfma_f32_16x16x32_bf16 v[30:33], a[136:139], a[64:67], v[30:33]// 000000004884: D3B5001E 1C7A8188
	v_mfma_f32_16x16x32_bf16 v[30:33], a[140:143], a[68:71], v[30:33]// 00000000488C: D3B5001E 1C7A898C
	s_cmp_le_i32 s83, s82                                      // 000000004894: BF055253
	s_cbranch_scc1 label_2590                                  // 000000004898: BF85003D
	v_mov_b32_e32 v22, s82                                     // 00000000489C: 7E2C0252
	s_sub_u32 s58, s81, s80                                    // 0000000048A0: 80BA5051
	s_add_u32 s58, s58, s7                                     // 0000000048A4: 803A073A
	v_add_u32_e32 v22, s58, v22                                // 0000000048A8: 682C2C3A
	s_sub_u32 s56, s83, 31                                     // 0000000048AC: 80B89F53
	v_lshrrev_b32_e32 v162, 4, v0                              // 0000000048B0: 21440084
	v_mul_i32_i24_e32 v162, 4, v162                            // 0000000048B4: 0D454484
	v_add_u32_e32 v162, s56, v162                              // 0000000048B8: 69454438
	v_add_u32_e32 v163, 1, v162                                // 0000000048BC: 69474481
	v_add_u32_e32 v164, 2, v162                                // 0000000048C0: 69494482
	v_add_u32_e32 v165, 3, v162                                // 0000000048C4: 694B4483
	v_mov_b32_e32 v23, 0xff800000                              // 0000000048C8: 7E2E02FF FF800000
	v_cmp_le_u32_e64 s[36:37], v162, v22                       // 0000000048D0: D0CB0024 00022DA2
	v_add_u32_e32 v162, 16, v162                               // 0000000048D8: 69454490
	s_nop 0                                                    // 0000000048DC: BF800000
	v_cndmask_b32_e64 v26, v23, v26, s[36:37]                  // 0000000048E0: D100001A 00923517
	v_cmp_le_u32_e64 s[36:37], v163, v22                       // 0000000048E8: D0CB0024 00022DA3
	v_add_u32_e32 v163, 16, v163                               // 0000000048F0: 69474690
	s_nop 0                                                    // 0000000048F4: BF800000
	v_cndmask_b32_e64 v27, v23, v27, s[36:37]                  // 0000000048F8: D100001B 00923717
	v_cmp_le_u32_e64 s[36:37], v164, v22                       // 000000004900: D0CB0024 00022DA4
	v_add_u32_e32 v164, 16, v164                               // 000000004908: 69494890
	s_nop 0                                                    // 00000000490C: BF800000
	v_cndmask_b32_e64 v28, v23, v28, s[36:37]                  // 000000004910: D100001C 00923917
	v_cmp_le_u32_e64 s[36:37], v165, v22                       // 000000004918: D0CB0024 00022DA5
	v_add_u32_e32 v165, 16, v165                               // 000000004920: 694B4A90
	s_nop 0                                                    // 000000004924: BF800000
	v_cndmask_b32_e64 v29, v23, v29, s[36:37]                  // 000000004928: D100001D 00923B17
	v_cmp_le_u32_e64 s[36:37], v162, v22                       // 000000004930: D0CB0024 00022DA2
	v_add_u32_e32 v162, 16, v162                               // 000000004938: 69454490
	s_nop 0                                                    // 00000000493C: BF800000
	v_cndmask_b32_e64 v30, v23, v30, s[36:37]                  // 000000004940: D100001E 00923D17
	v_cmp_le_u32_e64 s[36:37], v163, v22                       // 000000004948: D0CB0024 00022DA3
	v_add_u32_e32 v163, 16, v163                               // 000000004950: 69474690
	s_nop 0                                                    // 000000004954: BF800000
	v_cndmask_b32_e64 v31, v23, v31, s[36:37]                  // 000000004958: D100001F 00923F17
	v_cmp_le_u32_e64 s[36:37], v164, v22                       // 000000004960: D0CB0024 00022DA4
	v_add_u32_e32 v164, 16, v164                               // 000000004968: 69494890
	s_nop 0                                                    // 00000000496C: BF800000
	v_cndmask_b32_e64 v32, v23, v32, s[36:37]                  // 000000004970: D1000020 00924117
	v_cmp_le_u32_e64 s[36:37], v165, v22                       // 000000004978: D0CB0024 00022DA5
	v_add_u32_e32 v165, 16, v165                               // 000000004980: 694B4A90
	s_nop 0                                                    // 000000004984: BF800000
	v_cndmask_b32_e64 v33, v23, v33, s[36:37]                  // 000000004988: D1000021 00924317

0000000000004990 <label_2590>:
	s_add_u32 s83, s84, s83                                    // 000000004990: 80535354
	s_nop 2                                                    // 000000004994: BF800002
	v_mov_b32_e32 v23, v26                                     // 000000004998: 7E2E031A
	v_max3_f32 v23, v26, v27, v23                              // 00000000499C: D1D30017 045E371A
	v_max3_f32 v23, v28, v29, v23                              // 0000000049A4: D1D30017 045E3B1C
	v_max3_f32 v23, v30, v31, v23                              // 0000000049AC: D1D30017 045E3F1E
	v_max3_f32 v23, v32, v33, v23                              // 0000000049B4: D1D30017 045E4320
	v_mov_b32_e32 v22, v23                                     // 0000000049BC: 7E2C0317
	v_mov_b32_e32 v23, v23                                     // 0000000049C0: 7E2E0317
	s_nop 1                                                    // 0000000049C4: BF800001
	v_permlane16_swap_b32_e32 v22, v23                         // 0000000049C8: 7E2CB317
	v_mov_b32_e32 v25, v22                                     // 0000000049CC: 7E320316
	v_mov_b32_e32 v24, v23                                     // 0000000049D0: 7E300317
	s_nop 1                                                    // 0000000049D4: BF800001
	v_permlane32_swap_b32_e32 v22, v23                         // 0000000049D8: 7E2CB517
	v_permlane32_swap_b32_e32 v24, v25                         // 0000000049DC: 7E30B519
	v_max3_f32 v23, v22, v23, v23                              // 0000000049E0: D1D30017 045E2F16
	v_max3_f32 v23, v24, v25, v23                              // 0000000049E8: D1D30017 045E3318
	v_mov_b32_e32 v22, 0xff800000                              // 0000000049F0: 7E2C02FF FF800000
	v_cmp_eq_u32_e64 s[36:37], v22, v2                         // 0000000049F8: D0CA0024 00020516
	v_max_f32_e32 v23, v23, v2                                 // 000000004A00: 162E0517
	v_sub_f32_e32 v12, v2, v23                                 // 000000004A04: 04182F02
	v_cndmask_b32_e64 v12, v12, 0, s[36:37]                    // 000000004A08: D100000C 0091010C
	v_mov_b32_e32 v2, v23                                      // 000000004A10: 7E040317
	v_mul_f32_e32 v23, s5, v23                                 // 000000004A14: 0A2E2E05
	v_mul_f32_e32 v12, s5, v12                                 // 000000004A18: 0A181805
	v_exp_f32_e32 v12, v12                                     // 000000004A1C: 7E18410C
	v_fma_f32 v26, v26, s5, -v23                               // 000000004A20: D1CB001A 845C0B1A
	v_fma_f32 v27, v27, s5, -v23                               // 000000004A28: D1CB001B 845C0B1B
	v_fma_f32 v28, v28, s5, -v23                               // 000000004A30: D1CB001C 845C0B1C
	v_fma_f32 v29, v29, s5, -v23                               // 000000004A38: D1CB001D 845C0B1D
	v_fma_f32 v30, v30, s5, -v23                               // 000000004A40: D1CB001E 845C0B1E
	v_fma_f32 v31, v31, s5, -v23                               // 000000004A48: D1CB001F 845C0B1F
	v_fma_f32 v32, v32, s5, -v23                               // 000000004A50: D1CB0020 845C0B20
	v_fma_f32 v33, v33, s5, -v23                               // 000000004A58: D1CB0021 845C0B21
	v_exp_f32_e32 v26, v26                                     // 000000004A60: 7E34411A
	v_exp_f32_e32 v27, v27                                     // 000000004A64: 7E36411B
	v_exp_f32_e32 v28, v28                                     // 000000004A68: 7E38411C
	v_exp_f32_e32 v29, v29                                     // 000000004A6C: 7E3A411D
	v_exp_f32_e32 v30, v30                                     // 000000004A70: 7E3C411E
	v_exp_f32_e32 v31, v31                                     // 000000004A74: 7E3E411F
	v_exp_f32_e32 v32, v32                                     // 000000004A78: 7E404120
	v_exp_f32_e32 v33, v33                                     // 000000004A7C: 7E424121
	v_mul_f32_e32 v4, v12, v4                                  // 000000004A80: 0A08090C
	v_mov_b32_e32 v22, v26                                     // 000000004A84: 7E2C031A
	v_add_f32_e32 v22, v27, v22                                // 000000004A88: 022C2D1B
	v_add_f32_e32 v22, v28, v22                                // 000000004A8C: 022C2D1C
	v_add_f32_e32 v22, v29, v22                                // 000000004A90: 022C2D1D
	v_add_f32_e32 v22, v30, v22                                // 000000004A94: 022C2D1E
	v_add_f32_e32 v22, v31, v22                                // 000000004A98: 022C2D1F
	v_add_f32_e32 v22, v32, v22                                // 000000004A9C: 022C2D20
	v_add_f32_e32 v22, v33, v22                                // 000000004AA0: 022C2D21
	v_add_f32_e32 v4, v22, v4                                  // 000000004AA4: 02080916
	v_cvt_pk_bf16_f32 v26, v26, v27                            // 000000004AA8: D268001A 0002371A
	v_cvt_pk_bf16_f32 v27, v28, v29                            // 000000004AB0: D268001B 00023B1C
	v_cvt_pk_bf16_f32 v28, v30, v31                            // 000000004AB8: D268001C 00023F1E
	v_cvt_pk_bf16_f32 v29, v32, v33                            // 000000004AC0: D268001D 00024320
	s_nop 0                                                    // 000000004AC8: BF800000
	v_permlane32_swap_b32_e32 v26, v28                         // 000000004ACC: 7E34B51C
	v_permlane32_swap_b32_e32 v27, v29                         // 000000004AD0: 7E36B51D
	s_nop 0                                                    // 000000004AD4: BF800000
	v_permlane16_swap_b32_e32 v26, v28                         // 000000004AD8: 7E34B31C
	v_permlane16_swap_b32_e32 v27, v29                         // 000000004ADC: 7E36B31D
	v_mul_f32_e32 v34, v12, v34                                // 000000004AE0: 0A44450C
	v_mul_f32_e32 v35, v12, v35                                // 000000004AE4: 0A46470C
	v_mul_f32_e32 v36, v12, v36                                // 000000004AE8: 0A48490C
	v_mul_f32_e32 v37, v12, v37                                // 000000004AEC: 0A4A4B0C
	v_mul_f32_e32 v38, v12, v38                                // 000000004AF0: 0A4C4D0C
	v_mul_f32_e32 v39, v12, v39                                // 000000004AF4: 0A4E4F0C
	v_mul_f32_e32 v40, v12, v40                                // 000000004AF8: 0A50510C
	v_mul_f32_e32 v41, v12, v41                                // 000000004AFC: 0A52530C
	v_mul_f32_e32 v42, v12, v42                                // 000000004B00: 0A54550C
	v_mul_f32_e32 v43, v12, v43                                // 000000004B04: 0A56570C
	v_mul_f32_e32 v44, v12, v44                                // 000000004B08: 0A58590C
	v_mul_f32_e32 v45, v12, v45                                // 000000004B0C: 0A5A5B0C
	v_mul_f32_e32 v46, v12, v46                                // 000000004B10: 0A5C5D0C
	v_mul_f32_e32 v47, v12, v47                                // 000000004B14: 0A5E5F0C
	v_mul_f32_e32 v48, v12, v48                                // 000000004B18: 0A60610C
	v_mul_f32_e32 v49, v12, v49                                // 000000004B1C: 0A62630C
	v_mul_f32_e32 v50, v12, v50                                // 000000004B20: 0A64650C
	v_mul_f32_e32 v51, v12, v51                                // 000000004B24: 0A66670C
	v_mul_f32_e32 v52, v12, v52                                // 000000004B28: 0A68690C
	v_mul_f32_e32 v53, v12, v53                                // 000000004B2C: 0A6A6B0C
	v_mul_f32_e32 v54, v12, v54                                // 000000004B30: 0A6C6D0C
	v_mul_f32_e32 v55, v12, v55                                // 000000004B34: 0A6E6F0C
	v_mul_f32_e32 v56, v12, v56                                // 000000004B38: 0A70710C
	v_mul_f32_e32 v57, v12, v57                                // 000000004B3C: 0A72730C
	v_mul_f32_e32 v58, v12, v58                                // 000000004B40: 0A74750C
	v_mul_f32_e32 v59, v12, v59                                // 000000004B44: 0A76770C
	v_mul_f32_e32 v60, v12, v60                                // 000000004B48: 0A78790C
	v_mul_f32_e32 v61, v12, v61                                // 000000004B4C: 0A7A7B0C
	v_mul_f32_e32 v62, v12, v62                                // 000000004B50: 0A7C7D0C
	v_mul_f32_e32 v63, v12, v63                                // 000000004B54: 0A7E7F0C
	v_mul_f32_e32 v64, v12, v64                                // 000000004B58: 0A80810C
	v_mul_f32_e32 v65, v12, v65                                // 000000004B5C: 0A82830C
	v_mul_f32_e32 v66, v12, v66                                // 000000004B60: 0A84850C
	v_mul_f32_e32 v67, v12, v67                                // 000000004B64: 0A86870C
	v_mul_f32_e32 v68, v12, v68                                // 000000004B68: 0A88890C
	v_mul_f32_e32 v69, v12, v69                                // 000000004B6C: 0A8A8B0C
	v_mul_f32_e32 v70, v12, v70                                // 000000004B70: 0A8C8D0C
	v_mul_f32_e32 v71, v12, v71                                // 000000004B74: 0A8E8F0C
	v_mul_f32_e32 v72, v12, v72                                // 000000004B78: 0A90910C
	v_mul_f32_e32 v73, v12, v73                                // 000000004B7C: 0A92930C
	v_mul_f32_e32 v74, v12, v74                                // 000000004B80: 0A94950C
	v_mul_f32_e32 v75, v12, v75                                // 000000004B84: 0A96970C
	v_mul_f32_e32 v76, v12, v76                                // 000000004B88: 0A98990C
	v_mul_f32_e32 v77, v12, v77                                // 000000004B8C: 0A9A9B0C
	v_mul_f32_e32 v78, v12, v78                                // 000000004B90: 0A9C9D0C
	v_mul_f32_e32 v79, v12, v79                                // 000000004B94: 0A9E9F0C
	v_mul_f32_e32 v80, v12, v80                                // 000000004B98: 0AA0A10C
	v_mul_f32_e32 v81, v12, v81                                // 000000004B9C: 0AA2A30C
	v_mul_f32_e32 v82, v12, v82                                // 000000004BA0: 0AA4A50C
	v_mul_f32_e32 v83, v12, v83                                // 000000004BA4: 0AA6A70C
	v_mul_f32_e32 v84, v12, v84                                // 000000004BA8: 0AA8A90C
	v_mul_f32_e32 v85, v12, v85                                // 000000004BAC: 0AAAAB0C
	v_mul_f32_e32 v86, v12, v86                                // 000000004BB0: 0AACAD0C
	v_mul_f32_e32 v87, v12, v87                                // 000000004BB4: 0AAEAF0C
	v_mul_f32_e32 v88, v12, v88                                // 000000004BB8: 0AB0B10C
	v_mul_f32_e32 v89, v12, v89                                // 000000004BBC: 0AB2B30C
	v_mul_f32_e32 v90, v12, v90                                // 000000004BC0: 0AB4B50C
	v_mul_f32_e32 v91, v12, v91                                // 000000004BC4: 0AB6B70C
	v_mul_f32_e32 v92, v12, v92                                // 000000004BC8: 0AB8B90C
	v_mul_f32_e32 v93, v12, v93                                // 000000004BCC: 0ABABB0C
	v_mul_f32_e32 v94, v12, v94                                // 000000004BD0: 0ABCBD0C
	v_mul_f32_e32 v95, v12, v95                                // 000000004BD4: 0ABEBF0C
	v_mul_f32_e32 v96, v12, v96                                // 000000004BD8: 0AC0C10C
	v_mul_f32_e32 v97, v12, v97                                // 000000004BDC: 0AC2C30C
	v_mul_f32_e32 v98, v12, v98                                // 000000004BE0: 0AC4C50C
	v_mul_f32_e32 v99, v12, v99                                // 000000004BE4: 0AC6C70C
	v_mul_f32_e32 v100, v12, v100                              // 000000004BE8: 0AC8C90C
	v_mul_f32_e32 v101, v12, v101                              // 000000004BEC: 0ACACB0C
	v_mul_f32_e32 v102, v12, v102                              // 000000004BF0: 0ACCCD0C
	v_mul_f32_e32 v103, v12, v103                              // 000000004BF4: 0ACECF0C
	v_mul_f32_e32 v104, v12, v104                              // 000000004BF8: 0AD0D10C
	v_mul_f32_e32 v105, v12, v105                              // 000000004BFC: 0AD2D30C
	v_mul_f32_e32 v106, v12, v106                              // 000000004C00: 0AD4D50C
	v_mul_f32_e32 v107, v12, v107                              // 000000004C04: 0AD6D70C
	v_mul_f32_e32 v108, v12, v108                              // 000000004C08: 0AD8D90C
	v_mul_f32_e32 v109, v12, v109                              // 000000004C0C: 0ADADB0C
	v_mul_f32_e32 v110, v12, v110                              // 000000004C10: 0ADCDD0C
	v_mul_f32_e32 v111, v12, v111                              // 000000004C14: 0ADEDF0C
	v_mul_f32_e32 v112, v12, v112                              // 000000004C18: 0AE0E10C
	v_mul_f32_e32 v113, v12, v113                              // 000000004C1C: 0AE2E30C
	v_mul_f32_e32 v114, v12, v114                              // 000000004C20: 0AE4E50C
	v_mul_f32_e32 v115, v12, v115                              // 000000004C24: 0AE6E70C
	v_mul_f32_e32 v116, v12, v116                              // 000000004C28: 0AE8E90C
	v_mul_f32_e32 v117, v12, v117                              // 000000004C2C: 0AEAEB0C
	v_mul_f32_e32 v118, v12, v118                              // 000000004C30: 0AECED0C
	v_mul_f32_e32 v119, v12, v119                              // 000000004C34: 0AEEEF0C
	v_mul_f32_e32 v120, v12, v120                              // 000000004C38: 0AF0F10C
	v_mul_f32_e32 v121, v12, v121                              // 000000004C3C: 0AF2F30C
	v_mul_f32_e32 v122, v12, v122                              // 000000004C40: 0AF4F50C
	v_mul_f32_e32 v123, v12, v123                              // 000000004C44: 0AF6F70C
	v_mul_f32_e32 v124, v12, v124                              // 000000004C48: 0AF8F90C
	v_mul_f32_e32 v125, v12, v125                              // 000000004C4C: 0AFAFB0C
	v_mul_f32_e32 v126, v12, v126                              // 000000004C50: 0AFCFD0C
	v_mul_f32_e32 v127, v12, v127                              // 000000004C54: 0AFEFF0C
	v_mul_f32_e32 v128, v12, v128                              // 000000004C58: 0B01010C
	v_mul_f32_e32 v129, v12, v129                              // 000000004C5C: 0B03030C
	v_mul_f32_e32 v130, v12, v130                              // 000000004C60: 0B05050C
	v_mul_f32_e32 v131, v12, v131                              // 000000004C64: 0B07070C
	v_mul_f32_e32 v132, v12, v132                              // 000000004C68: 0B09090C
	v_mul_f32_e32 v133, v12, v133                              // 000000004C6C: 0B0B0B0C
	v_mul_f32_e32 v134, v12, v134                              // 000000004C70: 0B0D0D0C
	v_mul_f32_e32 v135, v12, v135                              // 000000004C74: 0B0F0F0C
	v_mul_f32_e32 v136, v12, v136                              // 000000004C78: 0B11110C
	v_mul_f32_e32 v137, v12, v137                              // 000000004C7C: 0B13130C
	v_mul_f32_e32 v138, v12, v138                              // 000000004C80: 0B15150C
	v_mul_f32_e32 v139, v12, v139                              // 000000004C84: 0B17170C
	v_mul_f32_e32 v140, v12, v140                              // 000000004C88: 0B19190C
	v_mul_f32_e32 v141, v12, v141                              // 000000004C8C: 0B1B1B0C
	v_mul_f32_e32 v142, v12, v142                              // 000000004C90: 0B1D1D0C
	v_mul_f32_e32 v143, v12, v143                              // 000000004C94: 0B1F1F0C
	v_mul_f32_e32 v144, v12, v144                              // 000000004C98: 0B21210C
	v_mul_f32_e32 v145, v12, v145                              // 000000004C9C: 0B23230C
	v_mul_f32_e32 v146, v12, v146                              // 000000004CA0: 0B25250C
	v_mul_f32_e32 v147, v12, v147                              // 000000004CA4: 0B27270C
	v_mul_f32_e32 v148, v12, v148                              // 000000004CA8: 0B29290C
	v_mul_f32_e32 v149, v12, v149                              // 000000004CAC: 0B2B2B0C
	v_mul_f32_e32 v150, v12, v150                              // 000000004CB0: 0B2D2D0C
	v_mul_f32_e32 v151, v12, v151                              // 000000004CB4: 0B2F2F0C
	v_mul_f32_e32 v152, v12, v152                              // 000000004CB8: 0B31310C
	v_mul_f32_e32 v153, v12, v153                              // 000000004CBC: 0B33330C
	v_mul_f32_e32 v154, v12, v154                              // 000000004CC0: 0B35350C
	v_mul_f32_e32 v155, v12, v155                              // 000000004CC4: 0B37370C
	v_mul_f32_e32 v156, v12, v156                              // 000000004CC8: 0B39390C
	v_mul_f32_e32 v157, v12, v157                              // 000000004CCC: 0B3B3B0C
	v_mul_f32_e32 v158, v12, v158                              // 000000004CD0: 0B3D3D0C
	v_mul_f32_e32 v159, v12, v159                              // 000000004CD4: 0B3F3F0C
	v_mul_f32_e32 v160, v12, v160                              // 000000004CD8: 0B41410C
	v_mul_f32_e32 v161, v12, v161                              // 000000004CDC: 0B43430C
	s_waitcnt lgkmcnt(0)                                       // 000000004CE0: BF8CC07F
	v_mfma_f32_16x16x32_bf16 v[34:37], a[144:147], v[26:29], v[34:37]// 000000004CE4: D3B50022 0C8A3590
	v_mfma_f32_16x16x32_bf16 v[38:41], a[148:151], v[26:29], v[38:41]// 000000004CEC: D3B50026 0C9A3594
	v_mfma_f32_16x16x32_bf16 v[42:45], a[152:155], v[26:29], v[42:45]// 000000004CF4: D3B5002A 0CAA3598
	v_mfma_f32_16x16x32_bf16 v[46:49], a[156:159], v[26:29], v[46:49]// 000000004CFC: D3B5002E 0CBA359C
	v_mfma_f32_16x16x32_bf16 v[50:53], a[160:163], v[26:29], v[50:53]// 000000004D04: D3B50032 0CCA35A0
	v_mfma_f32_16x16x32_bf16 v[54:57], a[164:167], v[26:29], v[54:57]// 000000004D0C: D3B50036 0CDA35A4
	v_mfma_f32_16x16x32_bf16 v[58:61], a[168:171], v[26:29], v[58:61]// 000000004D14: D3B5003A 0CEA35A8
	v_mfma_f32_16x16x32_bf16 v[62:65], a[172:175], v[26:29], v[62:65]// 000000004D1C: D3B5003E 0CFA35AC
	v_mfma_f32_16x16x32_bf16 v[66:69], a[176:179], v[26:29], v[66:69]// 000000004D24: D3B50042 0D0A35B0
	v_mfma_f32_16x16x32_bf16 v[70:73], a[180:183], v[26:29], v[70:73]// 000000004D2C: D3B50046 0D1A35B4
	v_mfma_f32_16x16x32_bf16 v[74:77], a[184:187], v[26:29], v[74:77]// 000000004D34: D3B5004A 0D2A35B8
	ds_read_b64_tr_b16 a[144:145], v6 offset:8192              // 000000004D3C: DBC62000 90000006
	ds_read_b64_tr_b16 a[146:147], v6 offset:8448              // 000000004D44: DBC62100 92000006
	ds_read_b64_tr_b16 a[148:149], v7 offset:8192              // 000000004D4C: DBC62000 94000007
	ds_read_b64_tr_b16 a[150:151], v7 offset:8448              // 000000004D54: DBC62100 96000007
	v_mfma_f32_16x16x32_bf16 v[78:81], a[188:191], v[26:29], v[78:81]// 000000004D5C: D3B5004E 0D3A35BC
	ds_read_b64_tr_b16 a[152:153], v6 offset:9216              // 000000004D64: DBC62400 98000006
	ds_read_b64_tr_b16 a[154:155], v6 offset:9472              // 000000004D6C: DBC62500 9A000006
	ds_read_b64_tr_b16 a[156:157], v7 offset:9216              // 000000004D74: DBC62400 9C000007
	ds_read_b64_tr_b16 a[158:159], v7 offset:9472              // 000000004D7C: DBC62500 9E000007
	v_mfma_f32_16x16x32_bf16 v[82:85], a[192:195], v[26:29], v[82:85]// 000000004D84: D3B50052 0D4A35C0
	ds_read_b64_tr_b16 a[160:161], v6 offset:10240             // 000000004D8C: DBC62800 A0000006
	ds_read_b64_tr_b16 a[162:163], v6 offset:10496             // 000000004D94: DBC62900 A2000006
	ds_read_b64_tr_b16 a[164:165], v7 offset:10240             // 000000004D9C: DBC62800 A4000007
	ds_read_b64_tr_b16 a[166:167], v7 offset:10496             // 000000004DA4: DBC62900 A6000007
	v_mfma_f32_16x16x32_bf16 v[86:89], a[196:199], v[26:29], v[86:89]// 000000004DAC: D3B50056 0D5A35C4
	ds_read_b64_tr_b16 a[168:169], v6 offset:11264             // 000000004DB4: DBC62C00 A8000006
	ds_read_b64_tr_b16 a[170:171], v6 offset:11520             // 000000004DBC: DBC62D00 AA000006
	ds_read_b64_tr_b16 a[172:173], v7 offset:11264             // 000000004DC4: DBC62C00 AC000007
	ds_read_b64_tr_b16 a[174:175], v7 offset:11520             // 000000004DCC: DBC62D00 AE000007
	v_mfma_f32_16x16x32_bf16 v[90:93], a[200:203], v[26:29], v[90:93]// 000000004DD4: D3B5005A 0D6A35C8
	ds_read_b64_tr_b16 a[176:177], v6 offset:12288             // 000000004DDC: DBC63000 B0000006
	ds_read_b64_tr_b16 a[178:179], v6 offset:12544             // 000000004DE4: DBC63100 B2000006
	ds_read_b64_tr_b16 a[180:181], v7 offset:12288             // 000000004DEC: DBC63000 B4000007
	ds_read_b64_tr_b16 a[182:183], v7 offset:12544             // 000000004DF4: DBC63100 B6000007
	v_mfma_f32_16x16x32_bf16 v[94:97], a[204:207], v[26:29], v[94:97]// 000000004DFC: D3B5005E 0D7A35CC
	ds_read_b64_tr_b16 a[184:185], v6 offset:13312             // 000000004E04: DBC63400 B8000006
	ds_read_b64_tr_b16 a[186:187], v6 offset:13568             // 000000004E0C: DBC63500 BA000006
	ds_read_b64_tr_b16 a[188:189], v7 offset:13312             // 000000004E14: DBC63400 BC000007
	ds_read_b64_tr_b16 a[190:191], v7 offset:13568             // 000000004E1C: DBC63500 BE000007
	ds_read_b64_tr_b16 a[192:193], v6 offset:14336             // 000000004E24: DBC63800 C0000006
	ds_read_b64_tr_b16 a[194:195], v6 offset:14592             // 000000004E2C: DBC63900 C2000006
	ds_read_b64_tr_b16 a[196:197], v7 offset:14336             // 000000004E34: DBC63800 C4000007
	ds_read_b64_tr_b16 a[198:199], v7 offset:14592             // 000000004E3C: DBC63900 C6000007
	ds_read_b64_tr_b16 a[200:201], v6 offset:15360             // 000000004E44: DBC63C00 C8000006
	ds_read_b64_tr_b16 a[202:203], v6 offset:15616             // 000000004E4C: DBC63D00 CA000006
	ds_read_b64_tr_b16 a[204:205], v7 offset:15360             // 000000004E54: DBC63C00 CC000007
	ds_read_b64_tr_b16 a[206:207], v7 offset:15616             // 000000004E5C: DBC63D00 CE000007
	s_waitcnt lgkmcnt(0)                                       // 000000004E64: BF8CC07F
	v_mfma_f32_16x16x32_bf16 v[98:101], a[144:147], v[26:29], v[98:101]// 000000004E68: D3B50062 0D8A3590
	v_mfma_f32_16x16x32_bf16 v[102:105], a[148:151], v[26:29], v[102:105]// 000000004E70: D3B50066 0D9A3594
	v_mfma_f32_16x16x32_bf16 v[106:109], a[152:155], v[26:29], v[106:109]// 000000004E78: D3B5006A 0DAA3598
	v_mfma_f32_16x16x32_bf16 v[110:113], a[156:159], v[26:29], v[110:113]// 000000004E80: D3B5006E 0DBA359C
	v_mfma_f32_16x16x32_bf16 v[114:117], a[160:163], v[26:29], v[114:117]// 000000004E88: D3B50072 0DCA35A0
	s_waitcnt vmcnt(10)                                        // 000000004E90: BF8C0F7A
	s_barrier                                                  // 000000004E94: BF8A0000
	ds_read_b128 a[72:75], v15                                 // 000000004E98: DBFE0000 4800000F
	v_mfma_f32_16x16x32_bf16 v[118:121], a[164:167], v[26:29], v[118:121]// 000000004EA0: D3B50076 0DDA35A4
	ds_read_b128 a[76:79], v15 offset:1024                     // 000000004EA8: DBFE0400 4C00000F
	v_mfma_f32_16x16x32_bf16 v[122:125], a[168:171], v[26:29], v[122:125]// 000000004EB0: D3B5007A 0DEA35A8
	ds_read_b128 a[80:83], v15 offset:2048                     // 000000004EB8: DBFE0800 5000000F
	v_mfma_f32_16x16x32_bf16 v[126:129], a[172:175], v[26:29], v[126:129]// 000000004EC0: D3B5007E 0DFA35AC
	ds_read_b128 a[84:87], v15 offset:3072                     // 000000004EC8: DBFE0C00 5400000F
	v_mfma_f32_16x16x32_bf16 v[130:133], a[176:179], v[26:29], v[130:133]// 000000004ED0: D3B50082 0E0A35B0
	ds_read_b128 a[88:91], v15 offset:4096                     // 000000004ED8: DBFE1000 5800000F
	v_mfma_f32_16x16x32_bf16 v[134:137], a[180:183], v[26:29], v[134:137]// 000000004EE0: D3B50086 0E1A35B4
	ds_read_b128 a[92:95], v15 offset:5120                     // 000000004EE8: DBFE1400 5C00000F
	v_mfma_f32_16x16x32_bf16 v[138:141], a[184:187], v[26:29], v[138:141]// 000000004EF0: D3B5008A 0E2A35B8
	ds_read_b128 a[96:99], v15 offset:6144                     // 000000004EF8: DBFE1800 6000000F
	v_mfma_f32_16x16x32_bf16 v[142:145], a[188:191], v[26:29], v[142:145]// 000000004F00: D3B5008E 0E3A35BC
	ds_read_b128 a[100:103], v15 offset:7168                   // 000000004F08: DBFE1C00 6400000F
	v_mfma_f32_16x16x32_bf16 v[146:149], a[192:195], v[26:29], v[146:149]// 000000004F10: D3B50092 0E4A35C0
	ds_read_b128 a[104:107], v15 offset:8192                   // 000000004F18: DBFE2000 6800000F
	v_mfma_f32_16x16x32_bf16 v[150:153], a[196:199], v[26:29], v[150:153]// 000000004F20: D3B50096 0E5A35C4
	ds_read_b128 a[108:111], v15 offset:9216                   // 000000004F28: DBFE2400 6C00000F
	v_mfma_f32_16x16x32_bf16 v[154:157], a[200:203], v[26:29], v[154:157]// 000000004F30: D3B5009A 0E6A35C8
	ds_read_b128 a[112:115], v15 offset:10240                  // 000000004F38: DBFE2800 7000000F
	v_mfma_f32_16x16x32_bf16 v[158:161], a[204:207], v[26:29], v[158:161]// 000000004F40: D3B5009E 0E7A35CC
	ds_read_b128 a[116:119], v15 offset:11264                  // 000000004F48: DBFE2C00 7400000F
	ds_read_b128 a[120:123], v15 offset:12288                  // 000000004F50: DBFE3000 7800000F
	ds_read_b128 a[124:127], v15 offset:13312                  // 000000004F58: DBFE3400 7C00000F
	ds_read_b128 a[128:131], v15 offset:14336                  // 000000004F60: DBFE3800 8000000F
	ds_read_b128 a[132:135], v15 offset:15360                  // 000000004F68: DBFE3C00 8400000F
	ds_read_b128 a[136:139], v15 offset:16384                  // 000000004F70: DBFE4000 8800000F
	ds_read_b128 a[140:143], v15 offset:17408                  // 000000004F78: DBFE4400 8C00000F
	s_addk_i32 s70, 0x1                                        // 000000004F80: B7460001
	s_cmp_lt_i32 s70, s71                                      // 000000004F84: BF044746
	s_cbranch_scc0 label_2B90                                  // 000000004F88: BF840001
	s_branch label_0C48                                        // 000000004F8C: BF82F82E

0000000000004f90 <label_2B90>:
	s_nop 0                                                    // 000000004F90: BF800000
	s_nop 0                                                    // 000000004F94: BF800000
	s_branch label_4AE4                                        // 000000004F98: BF8207D2

0000000000004f9c <label_2B9C>:
	s_waitcnt lgkmcnt(4)                                       // 000000004F9C: BF8CC47F
	v_mfma_f32_16x16x32_bf16 v[26:29], a[72:75], a[0:3], 0     // 000000004FA0: D3B5001A 1A020148
	v_mul_u32_u24_e64 v25, v19, s68                            // 000000004FA8: D1080019 00008913
	v_add_u32_e32 v25, v25, v1                                 // 000000004FB0: 68320319
	buffer_load_dword v18, v21, s[24:27], 0 offen              // 000000004FB4: E0501000 80061215
	ds_read_b128 a[72:75], v15 offset:18432                    // 000000004FBC: DBFE4800 4800000F
	v_mfma_f32_16x16x32_bf16 v[26:29], a[76:79], a[4:7], v[26:29]// 000000004FC4: D3B5001A 1C6A094C
	s_mov_b32 s56, 0xb000                                      // 000000004FCC: BEB800FF 0000B000
	s_mul_i32 s57, s7, 0x2400                                  // 000000004FD4: 9239FF07 00002400
	s_add_u32 m0, s56, s57                                     // 000000004FDC: 807C3938
	buffer_load_dwordx4 v25, s[20:23], 0 offen lds             // 000000004FE0: E05D1000 80050019
	s_add_i32 m0, m0, 0x3c0                                    // 000000004FE8: 817CFF7C 000003C0
	v_mfma_f32_16x16x32_bf16 v[26:29], a[80:83], a[8:11], v[26:29]// 000000004FF0: D3B5001A 1C6A1150
	ds_read_b128 a[76:79], v15 offset:19456                    // 000000004FF8: DBFE4C00 4C00000F
	v_mfma_f32_16x16x32_bf16 v[26:29], a[84:87], a[12:15], v[26:29]// 000000005000: D3B5001A 1C6A1954
	buffer_load_dwordx4 v25, s[20:23], 0 offen offset:64 lds   // 000000005008: E05D1040 80050019
	s_add_i32 m0, m0, 0x3c0                                    // 000000005010: 817CFF7C 000003C0
	v_mfma_f32_16x16x32_bf16 v[26:29], a[88:91], a[16:19], v[26:29]// 000000005018: D3B5001A 1C6A2158
	ds_read_b128 a[80:83], v15 offset:20480                    // 000000005020: DBFE5000 5000000F
	v_mfma_f32_16x16x32_bf16 v[26:29], a[92:95], a[20:23], v[26:29]// 000000005028: D3B5001A 1C6A295C
	buffer_load_dwordx4 v25, s[20:23], 0 offen offset:128 lds  // 000000005030: E05D1080 80050019
	s_add_i32 m0, m0, 0x3c0                                    // 000000005038: 817CFF7C 000003C0
	v_mfma_f32_16x16x32_bf16 v[26:29], a[96:99], a[24:27], v[26:29]// 000000005040: D3B5001A 1C6A3160
	ds_read_b128 a[84:87], v15 offset:21504                    // 000000005048: DBFE5400 5400000F
	v_mfma_f32_16x16x32_bf16 v[26:29], a[100:103], a[28:31], v[26:29]// 000000005050: D3B5001A 1C6A3964
	buffer_load_dwordx4 v25, s[20:23], 0 offen offset:192 lds  // 000000005058: E05D10C0 80050019
	s_add_i32 m0, m0, 0x3c0                                    // 000000005060: 817CFF7C 000003C0
	v_mfma_f32_16x16x32_bf16 v[26:29], a[104:107], a[32:35], v[26:29]// 000000005068: D3B5001A 1C6A4168
	ds_read_b128 a[88:91], v15 offset:22528                    // 000000005070: DBFE5800 5800000F
	v_mfma_f32_16x16x32_bf16 v[26:29], a[108:111], a[36:39], v[26:29]// 000000005078: D3B5001A 1C6A496C
	buffer_load_dwordx4 v25, s[20:23], 0 offen offset:256 lds  // 000000005080: E05D1100 80050019
	s_add_i32 m0, m0, 0x3c0                                    // 000000005088: 817CFF7C 000003C0
	v_mfma_f32_16x16x32_bf16 v[26:29], a[112:115], a[40:43], v[26:29]// 000000005090: D3B5001A 1C6A5170
	ds_read_b128 a[92:95], v15 offset:23552                    // 000000005098: DBFE5C00 5C00000F
	v_mfma_f32_16x16x32_bf16 v[26:29], a[116:119], a[44:47], v[26:29]// 0000000050A0: D3B5001A 1C6A5974
	buffer_load_dwordx4 v25, s[20:23], 0 offen offset:320 lds  // 0000000050A8: E05D1140 80050019
	s_add_i32 m0, m0, 0x3c0                                    // 0000000050B0: 817CFF7C 000003C0
	v_mfma_f32_16x16x32_bf16 v[26:29], a[120:123], a[48:51], v[26:29]// 0000000050B8: D3B5001A 1C6A6178
	ds_read_b128 a[96:99], v15 offset:24576                    // 0000000050C0: DBFE6000 6000000F
	v_mfma_f32_16x16x32_bf16 v[26:29], a[124:127], a[52:55], v[26:29]// 0000000050C8: D3B5001A 1C6A697C
	buffer_load_dwordx4 v25, s[20:23], 0 offen offset:384 lds  // 0000000050D0: E05D1180 80050019
	s_add_i32 m0, m0, 0x3c0                                    // 0000000050D8: 817CFF7C 000003C0
	v_mfma_f32_16x16x32_bf16 v[26:29], a[128:131], a[56:59], v[26:29]// 0000000050E0: D3B5001A 1C6A7180
	ds_read_b128 a[100:103], v15 offset:25600                  // 0000000050E8: DBFE6400 6400000F
	v_mfma_f32_16x16x32_bf16 v[26:29], a[132:135], a[60:63], v[26:29]// 0000000050F0: D3B5001A 1C6A7984
	buffer_load_dwordx4 v25, s[20:23], 0 offen offset:448 lds  // 0000000050F8: E05D11C0 80050019
	s_add_i32 m0, m0, 0x3c0                                    // 000000005100: 817CFF7C 000003C0
	v_mfma_f32_16x16x32_bf16 v[26:29], a[136:139], a[64:67], v[26:29]// 000000005108: D3B5001A 1C6A8188
	ds_read_b128 a[104:107], v15 offset:26624                  // 000000005110: DBFE6800 6800000F
	v_mfma_f32_16x16x32_bf16 v[26:29], a[140:143], a[68:71], v[26:29]// 000000005118: D3B5001A 1C6A898C
	buffer_load_dwordx4 v25, s[20:23], 0 offen offset:512 lds  // 000000005120: E05D1200 80050019
	s_add_i32 m0, m0, 0x3c0                                    // 000000005128: 817CFF7C 000003C0
	ds_read_b128 a[108:111], v15 offset:27648                  // 000000005130: DBFE6C00 6C00000F
	ds_read_b128 a[112:115], v15 offset:28672                  // 000000005138: DBFE7000 7000000F
	ds_read_b128 a[116:119], v15 offset:29696                  // 000000005140: DBFE7400 7400000F
	ds_read_b128 a[120:123], v15 offset:30720                  // 000000005148: DBFE7800 7800000F
	ds_read_b128 a[124:127], v15 offset:31744                  // 000000005150: DBFE7C00 7C00000F
	ds_read_b128 a[128:131], v15 offset:32768                  // 000000005158: DBFE8000 8000000F
	ds_read_b128 a[132:135], v15 offset:33792                  // 000000005160: DBFE8400 8400000F
	ds_read_b128 a[136:139], v15 offset:34816                  // 000000005168: DBFE8800 8800000F
	ds_read_b128 a[140:143], v15 offset:35840                  // 000000005170: DBFE8C00 8C00000F
	v_add_u32_e32 v21, s73, v21                                // 000000005178: 682A2A49
	s_waitcnt lgkmcnt(4)                                       // 00000000517C: BF8CC47F
	v_mfma_f32_16x16x32_bf16 v[30:33], a[72:75], a[0:3], 0     // 000000005180: D3B5001E 1A020148
	ds_read_b64_tr_b16 a[144:145], v8                          // 000000005188: DBC60000 90000008
	ds_read_b64_tr_b16 a[146:147], v8 offset:256               // 000000005190: DBC60100 92000008
	ds_read_b64_tr_b16 a[148:149], v9                          // 000000005198: DBC60000 94000009
	ds_read_b64_tr_b16 a[150:151], v9 offset:256               // 0000000051A0: DBC60100 96000009
	v_mfma_f32_16x16x32_bf16 v[30:33], a[76:79], a[4:7], v[30:33]// 0000000051A8: D3B5001E 1C7A094C
	v_mfma_f32_16x16x32_bf16 v[30:33], a[80:83], a[8:11], v[30:33]// 0000000051B0: D3B5001E 1C7A1150
	ds_read_b64_tr_b16 a[152:153], v8 offset:1024              // 0000000051B8: DBC60400 98000008
	ds_read_b64_tr_b16 a[154:155], v8 offset:1280              // 0000000051C0: DBC60500 9A000008
	ds_read_b64_tr_b16 a[156:157], v9 offset:1024              // 0000000051C8: DBC60400 9C000009
	ds_read_b64_tr_b16 a[158:159], v9 offset:1280              // 0000000051D0: DBC60500 9E000009
	v_mfma_f32_16x16x32_bf16 v[30:33], a[84:87], a[12:15], v[30:33]// 0000000051D8: D3B5001E 1C7A1954
	v_mfma_f32_16x16x32_bf16 v[30:33], a[88:91], a[16:19], v[30:33]// 0000000051E0: D3B5001E 1C7A2158
	ds_read_b64_tr_b16 a[160:161], v8 offset:2048              // 0000000051E8: DBC60800 A0000008
	ds_read_b64_tr_b16 a[162:163], v8 offset:2304              // 0000000051F0: DBC60900 A2000008
	ds_read_b64_tr_b16 a[164:165], v9 offset:2048              // 0000000051F8: DBC60800 A4000009
	ds_read_b64_tr_b16 a[166:167], v9 offset:2304              // 000000005200: DBC60900 A6000009
	v_mfma_f32_16x16x32_bf16 v[30:33], a[92:95], a[20:23], v[30:33]// 000000005208: D3B5001E 1C7A295C
	v_mfma_f32_16x16x32_bf16 v[30:33], a[96:99], a[24:27], v[30:33]// 000000005210: D3B5001E 1C7A3160
	ds_read_b64_tr_b16 a[168:169], v8 offset:3072              // 000000005218: DBC60C00 A8000008
	ds_read_b64_tr_b16 a[170:171], v8 offset:3328              // 000000005220: DBC60D00 AA000008
	ds_read_b64_tr_b16 a[172:173], v9 offset:3072              // 000000005228: DBC60C00 AC000009
	ds_read_b64_tr_b16 a[174:175], v9 offset:3328              // 000000005230: DBC60D00 AE000009
	v_mfma_f32_16x16x32_bf16 v[30:33], a[100:103], a[28:31], v[30:33]// 000000005238: D3B5001E 1C7A3964
	v_mfma_f32_16x16x32_bf16 v[30:33], a[104:107], a[32:35], v[30:33]// 000000005240: D3B5001E 1C7A4168
	ds_read_b64_tr_b16 a[176:177], v8 offset:4096              // 000000005248: DBC61000 B0000008
	ds_read_b64_tr_b16 a[178:179], v8 offset:4352              // 000000005250: DBC61100 B2000008
	ds_read_b64_tr_b16 a[180:181], v9 offset:4096              // 000000005258: DBC61000 B4000009
	ds_read_b64_tr_b16 a[182:183], v9 offset:4352              // 000000005260: DBC61100 B6000009
	v_mfma_f32_16x16x32_bf16 v[30:33], a[108:111], a[36:39], v[30:33]// 000000005268: D3B5001E 1C7A496C
	v_mfma_f32_16x16x32_bf16 v[30:33], a[112:115], a[40:43], v[30:33]// 000000005270: D3B5001E 1C7A5170
	ds_read_b64_tr_b16 a[184:185], v8 offset:5120              // 000000005278: DBC61400 B8000008
	ds_read_b64_tr_b16 a[186:187], v8 offset:5376              // 000000005280: DBC61500 BA000008
	ds_read_b64_tr_b16 a[188:189], v9 offset:5120              // 000000005288: DBC61400 BC000009
	ds_read_b64_tr_b16 a[190:191], v9 offset:5376              // 000000005290: DBC61500 BE000009
	v_mfma_f32_16x16x32_bf16 v[30:33], a[116:119], a[44:47], v[30:33]// 000000005298: D3B5001E 1C7A5974
	v_mfma_f32_16x16x32_bf16 v[30:33], a[120:123], a[48:51], v[30:33]// 0000000052A0: D3B5001E 1C7A6178
	ds_read_b64_tr_b16 a[192:193], v8 offset:6144              // 0000000052A8: DBC61800 C0000008
	ds_read_b64_tr_b16 a[194:195], v8 offset:6400              // 0000000052B0: DBC61900 C2000008
	ds_read_b64_tr_b16 a[196:197], v9 offset:6144              // 0000000052B8: DBC61800 C4000009
	ds_read_b64_tr_b16 a[198:199], v9 offset:6400              // 0000000052C0: DBC61900 C6000009
	v_mfma_f32_16x16x32_bf16 v[30:33], a[124:127], a[52:55], v[30:33]// 0000000052C8: D3B5001E 1C7A697C
	v_mfma_f32_16x16x32_bf16 v[30:33], a[128:131], a[56:59], v[30:33]// 0000000052D0: D3B5001E 1C7A7180
	ds_read_b64_tr_b16 a[200:201], v8 offset:7168              // 0000000052D8: DBC61C00 C8000008
	ds_read_b64_tr_b16 a[202:203], v8 offset:7424              // 0000000052E0: DBC61D00 CA000008
	ds_read_b64_tr_b16 a[204:205], v9 offset:7168              // 0000000052E8: DBC61C00 CC000009
	ds_read_b64_tr_b16 a[206:207], v9 offset:7424              // 0000000052F0: DBC61D00 CE000009
	v_mfma_f32_16x16x32_bf16 v[30:33], a[132:135], a[60:63], v[30:33]// 0000000052F8: D3B5001E 1C7A7984
	v_mfma_f32_16x16x32_bf16 v[30:33], a[136:139], a[64:67], v[30:33]// 000000005300: D3B5001E 1C7A8188
	v_mfma_f32_16x16x32_bf16 v[30:33], a[140:143], a[68:71], v[30:33]// 000000005308: D3B5001E 1C7A898C
	s_cmp_le_i32 s83, s82                                      // 000000005310: BF055253
	s_cbranch_scc1 label_300C                                  // 000000005314: BF85003D
	v_mov_b32_e32 v22, s82                                     // 000000005318: 7E2C0252
	s_sub_u32 s58, s81, s80                                    // 00000000531C: 80BA5051
	s_add_u32 s58, s58, s7                                     // 000000005320: 803A073A
	v_add_u32_e32 v22, s58, v22                                // 000000005324: 682C2C3A
	s_sub_u32 s56, s83, 31                                     // 000000005328: 80B89F53
	v_lshrrev_b32_e32 v162, 4, v0                              // 00000000532C: 21440084
	v_mul_i32_i24_e32 v162, 4, v162                            // 000000005330: 0D454484
	v_add_u32_e32 v162, s56, v162                              // 000000005334: 69454438
	v_add_u32_e32 v163, 1, v162                                // 000000005338: 69474481
	v_add_u32_e32 v164, 2, v162                                // 00000000533C: 69494482
	v_add_u32_e32 v165, 3, v162                                // 000000005340: 694B4483
	v_mov_b32_e32 v23, 0xff800000                              // 000000005344: 7E2E02FF FF800000
	v_cmp_le_u32_e64 s[36:37], v162, v22                       // 00000000534C: D0CB0024 00022DA2
	v_add_u32_e32 v162, 16, v162                               // 000000005354: 69454490
	s_nop 0                                                    // 000000005358: BF800000
	v_cndmask_b32_e64 v26, v23, v26, s[36:37]                  // 00000000535C: D100001A 00923517
	v_cmp_le_u32_e64 s[36:37], v163, v22                       // 000000005364: D0CB0024 00022DA3
	v_add_u32_e32 v163, 16, v163                               // 00000000536C: 69474690
	s_nop 0                                                    // 000000005370: BF800000
	v_cndmask_b32_e64 v27, v23, v27, s[36:37]                  // 000000005374: D100001B 00923717
	v_cmp_le_u32_e64 s[36:37], v164, v22                       // 00000000537C: D0CB0024 00022DA4
	v_add_u32_e32 v164, 16, v164                               // 000000005384: 69494890
	s_nop 0                                                    // 000000005388: BF800000
	v_cndmask_b32_e64 v28, v23, v28, s[36:37]                  // 00000000538C: D100001C 00923917
	v_cmp_le_u32_e64 s[36:37], v165, v22                       // 000000005394: D0CB0024 00022DA5
	v_add_u32_e32 v165, 16, v165                               // 00000000539C: 694B4A90
	s_nop 0                                                    // 0000000053A0: BF800000
	v_cndmask_b32_e64 v29, v23, v29, s[36:37]                  // 0000000053A4: D100001D 00923B17
	v_cmp_le_u32_e64 s[36:37], v162, v22                       // 0000000053AC: D0CB0024 00022DA2
	v_add_u32_e32 v162, 16, v162                               // 0000000053B4: 69454490
	s_nop 0                                                    // 0000000053B8: BF800000
	v_cndmask_b32_e64 v30, v23, v30, s[36:37]                  // 0000000053BC: D100001E 00923D17
	v_cmp_le_u32_e64 s[36:37], v163, v22                       // 0000000053C4: D0CB0024 00022DA3
	v_add_u32_e32 v163, 16, v163                               // 0000000053CC: 69474690
	s_nop 0                                                    // 0000000053D0: BF800000
	v_cndmask_b32_e64 v31, v23, v31, s[36:37]                  // 0000000053D4: D100001F 00923F17
	v_cmp_le_u32_e64 s[36:37], v164, v22                       // 0000000053DC: D0CB0024 00022DA4
	v_add_u32_e32 v164, 16, v164                               // 0000000053E4: 69494890
	s_nop 0                                                    // 0000000053E8: BF800000
	v_cndmask_b32_e64 v32, v23, v32, s[36:37]                  // 0000000053EC: D1000020 00924117
	v_cmp_le_u32_e64 s[36:37], v165, v22                       // 0000000053F4: D0CB0024 00022DA5
	v_add_u32_e32 v165, 16, v165                               // 0000000053FC: 694B4A90
	s_nop 0                                                    // 000000005400: BF800000
	v_cndmask_b32_e64 v33, v23, v33, s[36:37]                  // 000000005404: D1000021 00924317

000000000000540c <label_300C>:
	s_add_u32 s83, s84, s83                                    // 00000000540C: 80535354
	s_nop 2                                                    // 000000005410: BF800002
	v_mov_b32_e32 v23, v26                                     // 000000005414: 7E2E031A
	v_max3_f32 v23, v26, v27, v23                              // 000000005418: D1D30017 045E371A
	v_max3_f32 v23, v28, v29, v23                              // 000000005420: D1D30017 045E3B1C
	v_max3_f32 v23, v30, v31, v23                              // 000000005428: D1D30017 045E3F1E
	v_max3_f32 v23, v32, v33, v23                              // 000000005430: D1D30017 045E4320
	v_mov_b32_e32 v22, v23                                     // 000000005438: 7E2C0317
	v_mov_b32_e32 v23, v23                                     // 00000000543C: 7E2E0317
	s_nop 1                                                    // 000000005440: BF800001
	v_permlane16_swap_b32_e32 v22, v23                         // 000000005444: 7E2CB317
	v_mov_b32_e32 v25, v22                                     // 000000005448: 7E320316
	v_mov_b32_e32 v24, v23                                     // 00000000544C: 7E300317
	s_nop 1                                                    // 000000005450: BF800001
	v_permlane32_swap_b32_e32 v22, v23                         // 000000005454: 7E2CB517
	v_permlane32_swap_b32_e32 v24, v25                         // 000000005458: 7E30B519
	v_max3_f32 v23, v22, v23, v23                              // 00000000545C: D1D30017 045E2F16
	v_max3_f32 v23, v24, v25, v23                              // 000000005464: D1D30017 045E3318
	v_mov_b32_e32 v22, 0xff800000                              // 00000000546C: 7E2C02FF FF800000
	v_cmp_eq_u32_e64 s[36:37], v22, v2                         // 000000005474: D0CA0024 00020516
	v_max_f32_e32 v23, v23, v2                                 // 00000000547C: 162E0517
	v_sub_f32_e32 v12, v2, v23                                 // 000000005480: 04182F02
	v_cndmask_b32_e64 v12, v12, 0, s[36:37]                    // 000000005484: D100000C 0091010C
	v_mov_b32_e32 v2, v23                                      // 00000000548C: 7E040317
	v_mul_f32_e32 v23, s5, v23                                 // 000000005490: 0A2E2E05
	v_mul_f32_e32 v12, s5, v12                                 // 000000005494: 0A181805
	v_exp_f32_e32 v12, v12                                     // 000000005498: 7E18410C
	v_fma_f32 v26, v26, s5, -v23                               // 00000000549C: D1CB001A 845C0B1A
	v_fma_f32 v27, v27, s5, -v23                               // 0000000054A4: D1CB001B 845C0B1B
	v_fma_f32 v28, v28, s5, -v23                               // 0000000054AC: D1CB001C 845C0B1C
	v_fma_f32 v29, v29, s5, -v23                               // 0000000054B4: D1CB001D 845C0B1D
	v_fma_f32 v30, v30, s5, -v23                               // 0000000054BC: D1CB001E 845C0B1E
	v_fma_f32 v31, v31, s5, -v23                               // 0000000054C4: D1CB001F 845C0B1F
	v_fma_f32 v32, v32, s5, -v23                               // 0000000054CC: D1CB0020 845C0B20
	v_fma_f32 v33, v33, s5, -v23                               // 0000000054D4: D1CB0021 845C0B21
	v_exp_f32_e32 v26, v26                                     // 0000000054DC: 7E34411A
	v_exp_f32_e32 v27, v27                                     // 0000000054E0: 7E36411B
	v_exp_f32_e32 v28, v28                                     // 0000000054E4: 7E38411C
	v_exp_f32_e32 v29, v29                                     // 0000000054E8: 7E3A411D
	v_exp_f32_e32 v30, v30                                     // 0000000054EC: 7E3C411E
	v_exp_f32_e32 v31, v31                                     // 0000000054F0: 7E3E411F
	v_exp_f32_e32 v32, v32                                     // 0000000054F4: 7E404120
	v_exp_f32_e32 v33, v33                                     // 0000000054F8: 7E424121
	v_mul_f32_e32 v4, v12, v4                                  // 0000000054FC: 0A08090C
	v_mov_b32_e32 v22, v26                                     // 000000005500: 7E2C031A
	v_add_f32_e32 v22, v27, v22                                // 000000005504: 022C2D1B
	v_add_f32_e32 v22, v28, v22                                // 000000005508: 022C2D1C
	v_add_f32_e32 v22, v29, v22                                // 00000000550C: 022C2D1D
	v_add_f32_e32 v22, v30, v22                                // 000000005510: 022C2D1E
	v_add_f32_e32 v22, v31, v22                                // 000000005514: 022C2D1F
	v_add_f32_e32 v22, v32, v22                                // 000000005518: 022C2D20
	v_add_f32_e32 v22, v33, v22                                // 00000000551C: 022C2D21
	v_add_f32_e32 v4, v22, v4                                  // 000000005520: 02080916
	v_cvt_pk_bf16_f32 v26, v26, v27                            // 000000005524: D268001A 0002371A
	v_cvt_pk_bf16_f32 v27, v28, v29                            // 00000000552C: D268001B 00023B1C
	v_cvt_pk_bf16_f32 v28, v30, v31                            // 000000005534: D268001C 00023F1E
	v_cvt_pk_bf16_f32 v29, v32, v33                            // 00000000553C: D268001D 00024320
	s_nop 0                                                    // 000000005544: BF800000
	v_permlane32_swap_b32_e32 v26, v28                         // 000000005548: 7E34B51C
	v_permlane32_swap_b32_e32 v27, v29                         // 00000000554C: 7E36B51D
	s_nop 0                                                    // 000000005550: BF800000
	v_permlane16_swap_b32_e32 v26, v28                         // 000000005554: 7E34B31C
	v_permlane16_swap_b32_e32 v27, v29                         // 000000005558: 7E36B31D
	v_mul_f32_e32 v34, v12, v34                                // 00000000555C: 0A44450C
	v_mul_f32_e32 v35, v12, v35                                // 000000005560: 0A46470C
	v_mul_f32_e32 v36, v12, v36                                // 000000005564: 0A48490C
	v_mul_f32_e32 v37, v12, v37                                // 000000005568: 0A4A4B0C
	v_mul_f32_e32 v38, v12, v38                                // 00000000556C: 0A4C4D0C
	v_mul_f32_e32 v39, v12, v39                                // 000000005570: 0A4E4F0C
	v_mul_f32_e32 v40, v12, v40                                // 000000005574: 0A50510C
	v_mul_f32_e32 v41, v12, v41                                // 000000005578: 0A52530C
	v_mul_f32_e32 v42, v12, v42                                // 00000000557C: 0A54550C
	v_mul_f32_e32 v43, v12, v43                                // 000000005580: 0A56570C
	v_mul_f32_e32 v44, v12, v44                                // 000000005584: 0A58590C
	v_mul_f32_e32 v45, v12, v45                                // 000000005588: 0A5A5B0C
	v_mul_f32_e32 v46, v12, v46                                // 00000000558C: 0A5C5D0C
	v_mul_f32_e32 v47, v12, v47                                // 000000005590: 0A5E5F0C
	v_mul_f32_e32 v48, v12, v48                                // 000000005594: 0A60610C
	v_mul_f32_e32 v49, v12, v49                                // 000000005598: 0A62630C
	v_mul_f32_e32 v50, v12, v50                                // 00000000559C: 0A64650C
	v_mul_f32_e32 v51, v12, v51                                // 0000000055A0: 0A66670C
	v_mul_f32_e32 v52, v12, v52                                // 0000000055A4: 0A68690C
	v_mul_f32_e32 v53, v12, v53                                // 0000000055A8: 0A6A6B0C
	v_mul_f32_e32 v54, v12, v54                                // 0000000055AC: 0A6C6D0C
	v_mul_f32_e32 v55, v12, v55                                // 0000000055B0: 0A6E6F0C
	v_mul_f32_e32 v56, v12, v56                                // 0000000055B4: 0A70710C
	v_mul_f32_e32 v57, v12, v57                                // 0000000055B8: 0A72730C
	v_mul_f32_e32 v58, v12, v58                                // 0000000055BC: 0A74750C
	v_mul_f32_e32 v59, v12, v59                                // 0000000055C0: 0A76770C
	v_mul_f32_e32 v60, v12, v60                                // 0000000055C4: 0A78790C
	v_mul_f32_e32 v61, v12, v61                                // 0000000055C8: 0A7A7B0C
	v_mul_f32_e32 v62, v12, v62                                // 0000000055CC: 0A7C7D0C
	v_mul_f32_e32 v63, v12, v63                                // 0000000055D0: 0A7E7F0C
	v_mul_f32_e32 v64, v12, v64                                // 0000000055D4: 0A80810C
	v_mul_f32_e32 v65, v12, v65                                // 0000000055D8: 0A82830C
	v_mul_f32_e32 v66, v12, v66                                // 0000000055DC: 0A84850C
	v_mul_f32_e32 v67, v12, v67                                // 0000000055E0: 0A86870C
	v_mul_f32_e32 v68, v12, v68                                // 0000000055E4: 0A88890C
	v_mul_f32_e32 v69, v12, v69                                // 0000000055E8: 0A8A8B0C
	v_mul_f32_e32 v70, v12, v70                                // 0000000055EC: 0A8C8D0C
	v_mul_f32_e32 v71, v12, v71                                // 0000000055F0: 0A8E8F0C
	v_mul_f32_e32 v72, v12, v72                                // 0000000055F4: 0A90910C
	v_mul_f32_e32 v73, v12, v73                                // 0000000055F8: 0A92930C
	v_mul_f32_e32 v74, v12, v74                                // 0000000055FC: 0A94950C
	v_mul_f32_e32 v75, v12, v75                                // 000000005600: 0A96970C
	v_mul_f32_e32 v76, v12, v76                                // 000000005604: 0A98990C
	v_mul_f32_e32 v77, v12, v77                                // 000000005608: 0A9A9B0C
	v_mul_f32_e32 v78, v12, v78                                // 00000000560C: 0A9C9D0C
	v_mul_f32_e32 v79, v12, v79                                // 000000005610: 0A9E9F0C
	v_mul_f32_e32 v80, v12, v80                                // 000000005614: 0AA0A10C
	v_mul_f32_e32 v81, v12, v81                                // 000000005618: 0AA2A30C
	v_mul_f32_e32 v82, v12, v82                                // 00000000561C: 0AA4A50C
	v_mul_f32_e32 v83, v12, v83                                // 000000005620: 0AA6A70C
	v_mul_f32_e32 v84, v12, v84                                // 000000005624: 0AA8A90C
	v_mul_f32_e32 v85, v12, v85                                // 000000005628: 0AAAAB0C
	v_mul_f32_e32 v86, v12, v86                                // 00000000562C: 0AACAD0C
	v_mul_f32_e32 v87, v12, v87                                // 000000005630: 0AAEAF0C
	v_mul_f32_e32 v88, v12, v88                                // 000000005634: 0AB0B10C
	v_mul_f32_e32 v89, v12, v89                                // 000000005638: 0AB2B30C
	v_mul_f32_e32 v90, v12, v90                                // 00000000563C: 0AB4B50C
	v_mul_f32_e32 v91, v12, v91                                // 000000005640: 0AB6B70C
	v_mul_f32_e32 v92, v12, v92                                // 000000005644: 0AB8B90C
	v_mul_f32_e32 v93, v12, v93                                // 000000005648: 0ABABB0C
	v_mul_f32_e32 v94, v12, v94                                // 00000000564C: 0ABCBD0C
	v_mul_f32_e32 v95, v12, v95                                // 000000005650: 0ABEBF0C
	v_mul_f32_e32 v96, v12, v96                                // 000000005654: 0AC0C10C
	v_mul_f32_e32 v97, v12, v97                                // 000000005658: 0AC2C30C
	v_mul_f32_e32 v98, v12, v98                                // 00000000565C: 0AC4C50C
	v_mul_f32_e32 v99, v12, v99                                // 000000005660: 0AC6C70C
	v_mul_f32_e32 v100, v12, v100                              // 000000005664: 0AC8C90C
	v_mul_f32_e32 v101, v12, v101                              // 000000005668: 0ACACB0C
	v_mul_f32_e32 v102, v12, v102                              // 00000000566C: 0ACCCD0C
	v_mul_f32_e32 v103, v12, v103                              // 000000005670: 0ACECF0C
	v_mul_f32_e32 v104, v12, v104                              // 000000005674: 0AD0D10C
	v_mul_f32_e32 v105, v12, v105                              // 000000005678: 0AD2D30C
	v_mul_f32_e32 v106, v12, v106                              // 00000000567C: 0AD4D50C
	v_mul_f32_e32 v107, v12, v107                              // 000000005680: 0AD6D70C
	v_mul_f32_e32 v108, v12, v108                              // 000000005684: 0AD8D90C
	v_mul_f32_e32 v109, v12, v109                              // 000000005688: 0ADADB0C
	v_mul_f32_e32 v110, v12, v110                              // 00000000568C: 0ADCDD0C
	v_mul_f32_e32 v111, v12, v111                              // 000000005690: 0ADEDF0C
	v_mul_f32_e32 v112, v12, v112                              // 000000005694: 0AE0E10C
	v_mul_f32_e32 v113, v12, v113                              // 000000005698: 0AE2E30C
	v_mul_f32_e32 v114, v12, v114                              // 00000000569C: 0AE4E50C
	v_mul_f32_e32 v115, v12, v115                              // 0000000056A0: 0AE6E70C
	v_mul_f32_e32 v116, v12, v116                              // 0000000056A4: 0AE8E90C
	v_mul_f32_e32 v117, v12, v117                              // 0000000056A8: 0AEAEB0C
	v_mul_f32_e32 v118, v12, v118                              // 0000000056AC: 0AECED0C
	v_mul_f32_e32 v119, v12, v119                              // 0000000056B0: 0AEEEF0C
	v_mul_f32_e32 v120, v12, v120                              // 0000000056B4: 0AF0F10C
	v_mul_f32_e32 v121, v12, v121                              // 0000000056B8: 0AF2F30C
	v_mul_f32_e32 v122, v12, v122                              // 0000000056BC: 0AF4F50C
	v_mul_f32_e32 v123, v12, v123                              // 0000000056C0: 0AF6F70C
	v_mul_f32_e32 v124, v12, v124                              // 0000000056C4: 0AF8F90C
	v_mul_f32_e32 v125, v12, v125                              // 0000000056C8: 0AFAFB0C
	v_mul_f32_e32 v126, v12, v126                              // 0000000056CC: 0AFCFD0C
	v_mul_f32_e32 v127, v12, v127                              // 0000000056D0: 0AFEFF0C
	v_mul_f32_e32 v128, v12, v128                              // 0000000056D4: 0B01010C
	v_mul_f32_e32 v129, v12, v129                              // 0000000056D8: 0B03030C
	v_mul_f32_e32 v130, v12, v130                              // 0000000056DC: 0B05050C
	v_mul_f32_e32 v131, v12, v131                              // 0000000056E0: 0B07070C
	v_mul_f32_e32 v132, v12, v132                              // 0000000056E4: 0B09090C
	v_mul_f32_e32 v133, v12, v133                              // 0000000056E8: 0B0B0B0C
	v_mul_f32_e32 v134, v12, v134                              // 0000000056EC: 0B0D0D0C
	v_mul_f32_e32 v135, v12, v135                              // 0000000056F0: 0B0F0F0C
	v_mul_f32_e32 v136, v12, v136                              // 0000000056F4: 0B11110C
	v_mul_f32_e32 v137, v12, v137                              // 0000000056F8: 0B13130C
	v_mul_f32_e32 v138, v12, v138                              // 0000000056FC: 0B15150C
	v_mul_f32_e32 v139, v12, v139                              // 000000005700: 0B17170C
	v_mul_f32_e32 v140, v12, v140                              // 000000005704: 0B19190C
	v_mul_f32_e32 v141, v12, v141                              // 000000005708: 0B1B1B0C
	v_mul_f32_e32 v142, v12, v142                              // 00000000570C: 0B1D1D0C
	v_mul_f32_e32 v143, v12, v143                              // 000000005710: 0B1F1F0C
	v_mul_f32_e32 v144, v12, v144                              // 000000005714: 0B21210C
	v_mul_f32_e32 v145, v12, v145                              // 000000005718: 0B23230C
	v_mul_f32_e32 v146, v12, v146                              // 00000000571C: 0B25250C
	v_mul_f32_e32 v147, v12, v147                              // 000000005720: 0B27270C
	v_mul_f32_e32 v148, v12, v148                              // 000000005724: 0B29290C
	v_mul_f32_e32 v149, v12, v149                              // 000000005728: 0B2B2B0C
	v_mul_f32_e32 v150, v12, v150                              // 00000000572C: 0B2D2D0C
	v_mul_f32_e32 v151, v12, v151                              // 000000005730: 0B2F2F0C
	v_mul_f32_e32 v152, v12, v152                              // 000000005734: 0B31310C
	v_mul_f32_e32 v153, v12, v153                              // 000000005738: 0B33330C
	v_mul_f32_e32 v154, v12, v154                              // 00000000573C: 0B35350C
	v_mul_f32_e32 v155, v12, v155                              // 000000005740: 0B37370C
	v_mul_f32_e32 v156, v12, v156                              // 000000005744: 0B39390C
	v_mul_f32_e32 v157, v12, v157                              // 000000005748: 0B3B3B0C
	v_mul_f32_e32 v158, v12, v158                              // 00000000574C: 0B3D3D0C
	v_mul_f32_e32 v159, v12, v159                              // 000000005750: 0B3F3F0C
	v_mul_f32_e32 v160, v12, v160                              // 000000005754: 0B41410C
	v_mul_f32_e32 v161, v12, v161                              // 000000005758: 0B43430C
	s_waitcnt lgkmcnt(0)                                       // 00000000575C: BF8CC07F
	v_mfma_f32_16x16x32_bf16 v[34:37], a[144:147], v[26:29], v[34:37]// 000000005760: D3B50022 0C8A3590
	v_mfma_f32_16x16x32_bf16 v[38:41], a[148:151], v[26:29], v[38:41]// 000000005768: D3B50026 0C9A3594
	v_mfma_f32_16x16x32_bf16 v[42:45], a[152:155], v[26:29], v[42:45]// 000000005770: D3B5002A 0CAA3598
	v_mfma_f32_16x16x32_bf16 v[46:49], a[156:159], v[26:29], v[46:49]// 000000005778: D3B5002E 0CBA359C
	v_mfma_f32_16x16x32_bf16 v[50:53], a[160:163], v[26:29], v[50:53]// 000000005780: D3B50032 0CCA35A0
	v_mfma_f32_16x16x32_bf16 v[54:57], a[164:167], v[26:29], v[54:57]// 000000005788: D3B50036 0CDA35A4
	v_mfma_f32_16x16x32_bf16 v[58:61], a[168:171], v[26:29], v[58:61]// 000000005790: D3B5003A 0CEA35A8
	v_mfma_f32_16x16x32_bf16 v[62:65], a[172:175], v[26:29], v[62:65]// 000000005798: D3B5003E 0CFA35AC
	v_mfma_f32_16x16x32_bf16 v[66:69], a[176:179], v[26:29], v[66:69]// 0000000057A0: D3B50042 0D0A35B0
	v_mfma_f32_16x16x32_bf16 v[70:73], a[180:183], v[26:29], v[70:73]// 0000000057A8: D3B50046 0D1A35B4
	v_mfma_f32_16x16x32_bf16 v[74:77], a[184:187], v[26:29], v[74:77]// 0000000057B0: D3B5004A 0D2A35B8
	ds_read_b64_tr_b16 a[144:145], v8 offset:8192              // 0000000057B8: DBC62000 90000008
	ds_read_b64_tr_b16 a[146:147], v8 offset:8448              // 0000000057C0: DBC62100 92000008
	ds_read_b64_tr_b16 a[148:149], v9 offset:8192              // 0000000057C8: DBC62000 94000009
	ds_read_b64_tr_b16 a[150:151], v9 offset:8448              // 0000000057D0: DBC62100 96000009
	v_mfma_f32_16x16x32_bf16 v[78:81], a[188:191], v[26:29], v[78:81]// 0000000057D8: D3B5004E 0D3A35BC
	ds_read_b64_tr_b16 a[152:153], v8 offset:9216              // 0000000057E0: DBC62400 98000008
	ds_read_b64_tr_b16 a[154:155], v8 offset:9472              // 0000000057E8: DBC62500 9A000008
	ds_read_b64_tr_b16 a[156:157], v9 offset:9216              // 0000000057F0: DBC62400 9C000009
	ds_read_b64_tr_b16 a[158:159], v9 offset:9472              // 0000000057F8: DBC62500 9E000009
	v_mfma_f32_16x16x32_bf16 v[82:85], a[192:195], v[26:29], v[82:85]// 000000005800: D3B50052 0D4A35C0
	ds_read_b64_tr_b16 a[160:161], v8 offset:10240             // 000000005808: DBC62800 A0000008
	ds_read_b64_tr_b16 a[162:163], v8 offset:10496             // 000000005810: DBC62900 A2000008
	ds_read_b64_tr_b16 a[164:165], v9 offset:10240             // 000000005818: DBC62800 A4000009
	ds_read_b64_tr_b16 a[166:167], v9 offset:10496             // 000000005820: DBC62900 A6000009
	v_mfma_f32_16x16x32_bf16 v[86:89], a[196:199], v[26:29], v[86:89]// 000000005828: D3B50056 0D5A35C4
	ds_read_b64_tr_b16 a[168:169], v8 offset:11264             // 000000005830: DBC62C00 A8000008
	ds_read_b64_tr_b16 a[170:171], v8 offset:11520             // 000000005838: DBC62D00 AA000008
	ds_read_b64_tr_b16 a[172:173], v9 offset:11264             // 000000005840: DBC62C00 AC000009
	ds_read_b64_tr_b16 a[174:175], v9 offset:11520             // 000000005848: DBC62D00 AE000009
	v_mfma_f32_16x16x32_bf16 v[90:93], a[200:203], v[26:29], v[90:93]// 000000005850: D3B5005A 0D6A35C8
	ds_read_b64_tr_b16 a[176:177], v8 offset:12288             // 000000005858: DBC63000 B0000008
	ds_read_b64_tr_b16 a[178:179], v8 offset:12544             // 000000005860: DBC63100 B2000008
	ds_read_b64_tr_b16 a[180:181], v9 offset:12288             // 000000005868: DBC63000 B4000009
	ds_read_b64_tr_b16 a[182:183], v9 offset:12544             // 000000005870: DBC63100 B6000009
	v_mfma_f32_16x16x32_bf16 v[94:97], a[204:207], v[26:29], v[94:97]// 000000005878: D3B5005E 0D7A35CC
	ds_read_b64_tr_b16 a[184:185], v8 offset:13312             // 000000005880: DBC63400 B8000008
	ds_read_b64_tr_b16 a[186:187], v8 offset:13568             // 000000005888: DBC63500 BA000008
	ds_read_b64_tr_b16 a[188:189], v9 offset:13312             // 000000005890: DBC63400 BC000009
	ds_read_b64_tr_b16 a[190:191], v9 offset:13568             // 000000005898: DBC63500 BE000009
	ds_read_b64_tr_b16 a[192:193], v8 offset:14336             // 0000000058A0: DBC63800 C0000008
	ds_read_b64_tr_b16 a[194:195], v8 offset:14592             // 0000000058A8: DBC63900 C2000008
	ds_read_b64_tr_b16 a[196:197], v9 offset:14336             // 0000000058B0: DBC63800 C4000009
	ds_read_b64_tr_b16 a[198:199], v9 offset:14592             // 0000000058B8: DBC63900 C6000009
	ds_read_b64_tr_b16 a[200:201], v8 offset:15360             // 0000000058C0: DBC63C00 C8000008
	ds_read_b64_tr_b16 a[202:203], v8 offset:15616             // 0000000058C8: DBC63D00 CA000008
	ds_read_b64_tr_b16 a[204:205], v9 offset:15360             // 0000000058D0: DBC63C00 CC000009
	ds_read_b64_tr_b16 a[206:207], v9 offset:15616             // 0000000058D8: DBC63D00 CE000009
	s_waitcnt lgkmcnt(0)                                       // 0000000058E0: BF8CC07F
	v_mfma_f32_16x16x32_bf16 v[98:101], a[144:147], v[26:29], v[98:101]// 0000000058E4: D3B50062 0D8A3590
	v_mfma_f32_16x16x32_bf16 v[102:105], a[148:151], v[26:29], v[102:105]// 0000000058EC: D3B50066 0D9A3594
	v_mfma_f32_16x16x32_bf16 v[106:109], a[152:155], v[26:29], v[106:109]// 0000000058F4: D3B5006A 0DAA3598
	v_mfma_f32_16x16x32_bf16 v[110:113], a[156:159], v[26:29], v[110:113]// 0000000058FC: D3B5006E 0DBA359C
	v_mfma_f32_16x16x32_bf16 v[114:117], a[160:163], v[26:29], v[114:117]// 000000005904: D3B50072 0DCA35A0
	s_waitcnt vmcnt(10)                                        // 00000000590C: BF8C0F7A
	s_barrier                                                  // 000000005910: BF8A0000
	ds_read_b128 a[72:75], v16                                 // 000000005914: DBFE0000 48000010
	v_mfma_f32_16x16x32_bf16 v[118:121], a[164:167], v[26:29], v[118:121]// 00000000591C: D3B50076 0DDA35A4
	ds_read_b128 a[76:79], v16 offset:1024                     // 000000005924: DBFE0400 4C000010
	v_mfma_f32_16x16x32_bf16 v[122:125], a[168:171], v[26:29], v[122:125]// 00000000592C: D3B5007A 0DEA35A8
	ds_read_b128 a[80:83], v16 offset:2048                     // 000000005934: DBFE0800 50000010
	v_mfma_f32_16x16x32_bf16 v[126:129], a[172:175], v[26:29], v[126:129]// 00000000593C: D3B5007E 0DFA35AC
	ds_read_b128 a[84:87], v16 offset:3072                     // 000000005944: DBFE0C00 54000010
	v_mfma_f32_16x16x32_bf16 v[130:133], a[176:179], v[26:29], v[130:133]// 00000000594C: D3B50082 0E0A35B0
	ds_read_b128 a[88:91], v16 offset:4096                     // 000000005954: DBFE1000 58000010
	v_mfma_f32_16x16x32_bf16 v[134:137], a[180:183], v[26:29], v[134:137]// 00000000595C: D3B50086 0E1A35B4
	ds_read_b128 a[92:95], v16 offset:5120                     // 000000005964: DBFE1400 5C000010
	v_mfma_f32_16x16x32_bf16 v[138:141], a[184:187], v[26:29], v[138:141]// 00000000596C: D3B5008A 0E2A35B8
	ds_read_b128 a[96:99], v16 offset:6144                     // 000000005974: DBFE1800 60000010
	v_mfma_f32_16x16x32_bf16 v[142:145], a[188:191], v[26:29], v[142:145]// 00000000597C: D3B5008E 0E3A35BC
	ds_read_b128 a[100:103], v16 offset:7168                   // 000000005984: DBFE1C00 64000010
	v_mfma_f32_16x16x32_bf16 v[146:149], a[192:195], v[26:29], v[146:149]// 00000000598C: D3B50092 0E4A35C0
	ds_read_b128 a[104:107], v16 offset:8192                   // 000000005994: DBFE2000 68000010
	v_mfma_f32_16x16x32_bf16 v[150:153], a[196:199], v[26:29], v[150:153]// 00000000599C: D3B50096 0E5A35C4
	ds_read_b128 a[108:111], v16 offset:9216                   // 0000000059A4: DBFE2400 6C000010
	v_mfma_f32_16x16x32_bf16 v[154:157], a[200:203], v[26:29], v[154:157]// 0000000059AC: D3B5009A 0E6A35C8
	ds_read_b128 a[112:115], v16 offset:10240                  // 0000000059B4: DBFE2800 70000010
	v_mfma_f32_16x16x32_bf16 v[158:161], a[204:207], v[26:29], v[158:161]// 0000000059BC: D3B5009E 0E7A35CC
	ds_read_b128 a[116:119], v16 offset:11264                  // 0000000059C4: DBFE2C00 74000010
	ds_read_b128 a[120:123], v16 offset:12288                  // 0000000059CC: DBFE3000 78000010
	ds_read_b128 a[124:127], v16 offset:13312                  // 0000000059D4: DBFE3400 7C000010
	ds_read_b128 a[128:131], v16 offset:14336                  // 0000000059DC: DBFE3800 80000010
	ds_read_b128 a[132:135], v16 offset:15360                  // 0000000059E4: DBFE3C00 84000010
	ds_read_b128 a[136:139], v16 offset:16384                  // 0000000059EC: DBFE4000 88000010
	ds_read_b128 a[140:143], v16 offset:17408                  // 0000000059F4: DBFE4400 8C000010
	s_addk_i32 s70, 0x1                                        // 0000000059FC: B7460001
	s_cmp_lt_i32 s70, s71                                      // 000000005A00: BF044746
	s_cbranch_scc0 label_2B90                                  // 000000005A04: BF84FD62
	s_waitcnt lgkmcnt(4)                                       // 000000005A08: BF8CC47F
	v_mfma_f32_16x16x32_bf16 v[26:29], a[72:75], a[0:3], 0     // 000000005A0C: D3B5001A 1A020148
	v_mul_u32_u24_e64 v25, v17, s68                            // 000000005A14: D1080019 00008911
	v_add_u32_e32 v25, v25, v1                                 // 000000005A1C: 68320319
	buffer_load_dword v19, v21, s[24:27], 0 offen              // 000000005A20: E0501000 80061315
	ds_read_b128 a[72:75], v16 offset:18432                    // 000000005A28: DBFE4800 48000010
	v_mfma_f32_16x16x32_bf16 v[26:29], a[76:79], a[4:7], v[26:29]// 000000005A30: D3B5001A 1C6A094C
	s_mov_b32 s56, 0x14000                                     // 000000005A38: BEB800FF 00014000
	s_mul_i32 s57, s7, 0x2400                                  // 000000005A40: 9239FF07 00002400
	s_add_u32 m0, s56, s57                                     // 000000005A48: 807C3938
	buffer_load_dwordx4 v25, s[20:23], 0 offen lds             // 000000005A4C: E05D1000 80050019
	s_add_i32 m0, m0, 0x3c0                                    // 000000005A54: 817CFF7C 000003C0
	v_mfma_f32_16x16x32_bf16 v[26:29], a[80:83], a[8:11], v[26:29]// 000000005A5C: D3B5001A 1C6A1150
	ds_read_b128 a[76:79], v16 offset:19456                    // 000000005A64: DBFE4C00 4C000010
	v_mfma_f32_16x16x32_bf16 v[26:29], a[84:87], a[12:15], v[26:29]// 000000005A6C: D3B5001A 1C6A1954
	buffer_load_dwordx4 v25, s[20:23], 0 offen offset:64 lds   // 000000005A74: E05D1040 80050019
	s_add_i32 m0, m0, 0x3c0                                    // 000000005A7C: 817CFF7C 000003C0
	v_mfma_f32_16x16x32_bf16 v[26:29], a[88:91], a[16:19], v[26:29]// 000000005A84: D3B5001A 1C6A2158
	ds_read_b128 a[80:83], v16 offset:20480                    // 000000005A8C: DBFE5000 50000010
	v_mfma_f32_16x16x32_bf16 v[26:29], a[92:95], a[20:23], v[26:29]// 000000005A94: D3B5001A 1C6A295C
	buffer_load_dwordx4 v25, s[20:23], 0 offen offset:128 lds  // 000000005A9C: E05D1080 80050019
	s_add_i32 m0, m0, 0x3c0                                    // 000000005AA4: 817CFF7C 000003C0
	v_mfma_f32_16x16x32_bf16 v[26:29], a[96:99], a[24:27], v[26:29]// 000000005AAC: D3B5001A 1C6A3160
	ds_read_b128 a[84:87], v16 offset:21504                    // 000000005AB4: DBFE5400 54000010
	v_mfma_f32_16x16x32_bf16 v[26:29], a[100:103], a[28:31], v[26:29]// 000000005ABC: D3B5001A 1C6A3964
	buffer_load_dwordx4 v25, s[20:23], 0 offen offset:192 lds  // 000000005AC4: E05D10C0 80050019
	s_add_i32 m0, m0, 0x3c0                                    // 000000005ACC: 817CFF7C 000003C0
	v_mfma_f32_16x16x32_bf16 v[26:29], a[104:107], a[32:35], v[26:29]// 000000005AD4: D3B5001A 1C6A4168
	ds_read_b128 a[88:91], v16 offset:22528                    // 000000005ADC: DBFE5800 58000010
	v_mfma_f32_16x16x32_bf16 v[26:29], a[108:111], a[36:39], v[26:29]// 000000005AE4: D3B5001A 1C6A496C
	buffer_load_dwordx4 v25, s[20:23], 0 offen offset:256 lds  // 000000005AEC: E05D1100 80050019
	s_add_i32 m0, m0, 0x3c0                                    // 000000005AF4: 817CFF7C 000003C0
	v_mfma_f32_16x16x32_bf16 v[26:29], a[112:115], a[40:43], v[26:29]// 000000005AFC: D3B5001A 1C6A5170
	ds_read_b128 a[92:95], v16 offset:23552                    // 000000005B04: DBFE5C00 5C000010
	v_mfma_f32_16x16x32_bf16 v[26:29], a[116:119], a[44:47], v[26:29]// 000000005B0C: D3B5001A 1C6A5974
	buffer_load_dwordx4 v25, s[20:23], 0 offen offset:320 lds  // 000000005B14: E05D1140 80050019
	s_add_i32 m0, m0, 0x3c0                                    // 000000005B1C: 817CFF7C 000003C0
	v_mfma_f32_16x16x32_bf16 v[26:29], a[120:123], a[48:51], v[26:29]// 000000005B24: D3B5001A 1C6A6178
	ds_read_b128 a[96:99], v16 offset:24576                    // 000000005B2C: DBFE6000 60000010
	v_mfma_f32_16x16x32_bf16 v[26:29], a[124:127], a[52:55], v[26:29]// 000000005B34: D3B5001A 1C6A697C
	buffer_load_dwordx4 v25, s[20:23], 0 offen offset:384 lds  // 000000005B3C: E05D1180 80050019
	s_add_i32 m0, m0, 0x3c0                                    // 000000005B44: 817CFF7C 000003C0
	v_mfma_f32_16x16x32_bf16 v[26:29], a[128:131], a[56:59], v[26:29]// 000000005B4C: D3B5001A 1C6A7180
	ds_read_b128 a[100:103], v16 offset:25600                  // 000000005B54: DBFE6400 64000010
	v_mfma_f32_16x16x32_bf16 v[26:29], a[132:135], a[60:63], v[26:29]// 000000005B5C: D3B5001A 1C6A7984
	buffer_load_dwordx4 v25, s[20:23], 0 offen offset:448 lds  // 000000005B64: E05D11C0 80050019
	s_add_i32 m0, m0, 0x3c0                                    // 000000005B6C: 817CFF7C 000003C0
	v_mfma_f32_16x16x32_bf16 v[26:29], a[136:139], a[64:67], v[26:29]// 000000005B74: D3B5001A 1C6A8188
	ds_read_b128 a[104:107], v16 offset:26624                  // 000000005B7C: DBFE6800 68000010
	v_mfma_f32_16x16x32_bf16 v[26:29], a[140:143], a[68:71], v[26:29]// 000000005B84: D3B5001A 1C6A898C
	buffer_load_dwordx4 v25, s[20:23], 0 offen offset:512 lds  // 000000005B8C: E05D1200 80050019
	s_add_i32 m0, m0, 0x3c0                                    // 000000005B94: 817CFF7C 000003C0
	ds_read_b128 a[108:111], v16 offset:27648                  // 000000005B9C: DBFE6C00 6C000010
	ds_read_b128 a[112:115], v16 offset:28672                  // 000000005BA4: DBFE7000 70000010
	ds_read_b128 a[116:119], v16 offset:29696                  // 000000005BAC: DBFE7400 74000010
	ds_read_b128 a[120:123], v16 offset:30720                  // 000000005BB4: DBFE7800 78000010
	ds_read_b128 a[124:127], v16 offset:31744                  // 000000005BBC: DBFE7C00 7C000010
	ds_read_b128 a[128:131], v16 offset:32768                  // 000000005BC4: DBFE8000 80000010
	ds_read_b128 a[132:135], v16 offset:33792                  // 000000005BCC: DBFE8400 84000010
	ds_read_b128 a[136:139], v16 offset:34816                  // 000000005BD4: DBFE8800 88000010
	ds_read_b128 a[140:143], v16 offset:35840                  // 000000005BDC: DBFE8C00 8C000010
	v_add_u32_e32 v21, s73, v21                                // 000000005BE4: 682A2A49
	s_waitcnt lgkmcnt(4)                                       // 000000005BE8: BF8CC47F
	v_mfma_f32_16x16x32_bf16 v[30:33], a[72:75], a[0:3], 0     // 000000005BEC: D3B5001E 1A020148
	ds_read_b64_tr_b16 a[144:145], v10                         // 000000005BF4: DBC60000 9000000A
	ds_read_b64_tr_b16 a[146:147], v10 offset:256              // 000000005BFC: DBC60100 9200000A
	ds_read_b64_tr_b16 a[148:149], v11                         // 000000005C04: DBC60000 9400000B
	ds_read_b64_tr_b16 a[150:151], v11 offset:256              // 000000005C0C: DBC60100 9600000B
	v_mfma_f32_16x16x32_bf16 v[30:33], a[76:79], a[4:7], v[30:33]// 000000005C14: D3B5001E 1C7A094C
	v_mfma_f32_16x16x32_bf16 v[30:33], a[80:83], a[8:11], v[30:33]// 000000005C1C: D3B5001E 1C7A1150
	ds_read_b64_tr_b16 a[152:153], v10 offset:1024             // 000000005C24: DBC60400 9800000A
	ds_read_b64_tr_b16 a[154:155], v10 offset:1280             // 000000005C2C: DBC60500 9A00000A
	ds_read_b64_tr_b16 a[156:157], v11 offset:1024             // 000000005C34: DBC60400 9C00000B
	ds_read_b64_tr_b16 a[158:159], v11 offset:1280             // 000000005C3C: DBC60500 9E00000B
	v_mfma_f32_16x16x32_bf16 v[30:33], a[84:87], a[12:15], v[30:33]// 000000005C44: D3B5001E 1C7A1954
	v_mfma_f32_16x16x32_bf16 v[30:33], a[88:91], a[16:19], v[30:33]// 000000005C4C: D3B5001E 1C7A2158
	ds_read_b64_tr_b16 a[160:161], v10 offset:2048             // 000000005C54: DBC60800 A000000A
	ds_read_b64_tr_b16 a[162:163], v10 offset:2304             // 000000005C5C: DBC60900 A200000A
	ds_read_b64_tr_b16 a[164:165], v11 offset:2048             // 000000005C64: DBC60800 A400000B
	ds_read_b64_tr_b16 a[166:167], v11 offset:2304             // 000000005C6C: DBC60900 A600000B
	v_mfma_f32_16x16x32_bf16 v[30:33], a[92:95], a[20:23], v[30:33]// 000000005C74: D3B5001E 1C7A295C
	v_mfma_f32_16x16x32_bf16 v[30:33], a[96:99], a[24:27], v[30:33]// 000000005C7C: D3B5001E 1C7A3160
	ds_read_b64_tr_b16 a[168:169], v10 offset:3072             // 000000005C84: DBC60C00 A800000A
	ds_read_b64_tr_b16 a[170:171], v10 offset:3328             // 000000005C8C: DBC60D00 AA00000A
	ds_read_b64_tr_b16 a[172:173], v11 offset:3072             // 000000005C94: DBC60C00 AC00000B
	ds_read_b64_tr_b16 a[174:175], v11 offset:3328             // 000000005C9C: DBC60D00 AE00000B
	v_mfma_f32_16x16x32_bf16 v[30:33], a[100:103], a[28:31], v[30:33]// 000000005CA4: D3B5001E 1C7A3964
	v_mfma_f32_16x16x32_bf16 v[30:33], a[104:107], a[32:35], v[30:33]// 000000005CAC: D3B5001E 1C7A4168
	ds_read_b64_tr_b16 a[176:177], v10 offset:4096             // 000000005CB4: DBC61000 B000000A
	ds_read_b64_tr_b16 a[178:179], v10 offset:4352             // 000000005CBC: DBC61100 B200000A
	ds_read_b64_tr_b16 a[180:181], v11 offset:4096             // 000000005CC4: DBC61000 B400000B
	ds_read_b64_tr_b16 a[182:183], v11 offset:4352             // 000000005CCC: DBC61100 B600000B
	v_mfma_f32_16x16x32_bf16 v[30:33], a[108:111], a[36:39], v[30:33]// 000000005CD4: D3B5001E 1C7A496C
	v_mfma_f32_16x16x32_bf16 v[30:33], a[112:115], a[40:43], v[30:33]// 000000005CDC: D3B5001E 1C7A5170
	ds_read_b64_tr_b16 a[184:185], v10 offset:5120             // 000000005CE4: DBC61400 B800000A
	ds_read_b64_tr_b16 a[186:187], v10 offset:5376             // 000000005CEC: DBC61500 BA00000A
	ds_read_b64_tr_b16 a[188:189], v11 offset:5120             // 000000005CF4: DBC61400 BC00000B
	ds_read_b64_tr_b16 a[190:191], v11 offset:5376             // 000000005CFC: DBC61500 BE00000B
	v_mfma_f32_16x16x32_bf16 v[30:33], a[116:119], a[44:47], v[30:33]// 000000005D04: D3B5001E 1C7A5974
	v_mfma_f32_16x16x32_bf16 v[30:33], a[120:123], a[48:51], v[30:33]// 000000005D0C: D3B5001E 1C7A6178
	ds_read_b64_tr_b16 a[192:193], v10 offset:6144             // 000000005D14: DBC61800 C000000A
	ds_read_b64_tr_b16 a[194:195], v10 offset:6400             // 000000005D1C: DBC61900 C200000A
	ds_read_b64_tr_b16 a[196:197], v11 offset:6144             // 000000005D24: DBC61800 C400000B
	ds_read_b64_tr_b16 a[198:199], v11 offset:6400             // 000000005D2C: DBC61900 C600000B
	v_mfma_f32_16x16x32_bf16 v[30:33], a[124:127], a[52:55], v[30:33]// 000000005D34: D3B5001E 1C7A697C
	v_mfma_f32_16x16x32_bf16 v[30:33], a[128:131], a[56:59], v[30:33]// 000000005D3C: D3B5001E 1C7A7180
	ds_read_b64_tr_b16 a[200:201], v10 offset:7168             // 000000005D44: DBC61C00 C800000A
	ds_read_b64_tr_b16 a[202:203], v10 offset:7424             // 000000005D4C: DBC61D00 CA00000A
	ds_read_b64_tr_b16 a[204:205], v11 offset:7168             // 000000005D54: DBC61C00 CC00000B
	ds_read_b64_tr_b16 a[206:207], v11 offset:7424             // 000000005D5C: DBC61D00 CE00000B
	v_mfma_f32_16x16x32_bf16 v[30:33], a[132:135], a[60:63], v[30:33]// 000000005D64: D3B5001E 1C7A7984
	v_mfma_f32_16x16x32_bf16 v[30:33], a[136:139], a[64:67], v[30:33]// 000000005D6C: D3B5001E 1C7A8188
	v_mfma_f32_16x16x32_bf16 v[30:33], a[140:143], a[68:71], v[30:33]// 000000005D74: D3B5001E 1C7A898C
	s_cmp_le_i32 s83, s82                                      // 000000005D7C: BF055253
	s_cbranch_scc1 label_3A78                                  // 000000005D80: BF85003D
	v_mov_b32_e32 v22, s82                                     // 000000005D84: 7E2C0252
	s_sub_u32 s58, s81, s80                                    // 000000005D88: 80BA5051
	s_add_u32 s58, s58, s7                                     // 000000005D8C: 803A073A
	v_add_u32_e32 v22, s58, v22                                // 000000005D90: 682C2C3A
	s_sub_u32 s56, s83, 31                                     // 000000005D94: 80B89F53
	v_lshrrev_b32_e32 v162, 4, v0                              // 000000005D98: 21440084
	v_mul_i32_i24_e32 v162, 4, v162                            // 000000005D9C: 0D454484
	v_add_u32_e32 v162, s56, v162                              // 000000005DA0: 69454438
	v_add_u32_e32 v163, 1, v162                                // 000000005DA4: 69474481
	v_add_u32_e32 v164, 2, v162                                // 000000005DA8: 69494482
	v_add_u32_e32 v165, 3, v162                                // 000000005DAC: 694B4483
	v_mov_b32_e32 v23, 0xff800000                              // 000000005DB0: 7E2E02FF FF800000
	v_cmp_le_u32_e64 s[36:37], v162, v22                       // 000000005DB8: D0CB0024 00022DA2
	v_add_u32_e32 v162, 16, v162                               // 000000005DC0: 69454490
	s_nop 0                                                    // 000000005DC4: BF800000
	v_cndmask_b32_e64 v26, v23, v26, s[36:37]                  // 000000005DC8: D100001A 00923517
	v_cmp_le_u32_e64 s[36:37], v163, v22                       // 000000005DD0: D0CB0024 00022DA3
	v_add_u32_e32 v163, 16, v163                               // 000000005DD8: 69474690
	s_nop 0                                                    // 000000005DDC: BF800000
	v_cndmask_b32_e64 v27, v23, v27, s[36:37]                  // 000000005DE0: D100001B 00923717
	v_cmp_le_u32_e64 s[36:37], v164, v22                       // 000000005DE8: D0CB0024 00022DA4
	v_add_u32_e32 v164, 16, v164                               // 000000005DF0: 69494890
	s_nop 0                                                    // 000000005DF4: BF800000
	v_cndmask_b32_e64 v28, v23, v28, s[36:37]                  // 000000005DF8: D100001C 00923917
	v_cmp_le_u32_e64 s[36:37], v165, v22                       // 000000005E00: D0CB0024 00022DA5
	v_add_u32_e32 v165, 16, v165                               // 000000005E08: 694B4A90
	s_nop 0                                                    // 000000005E0C: BF800000
	v_cndmask_b32_e64 v29, v23, v29, s[36:37]                  // 000000005E10: D100001D 00923B17
	v_cmp_le_u32_e64 s[36:37], v162, v22                       // 000000005E18: D0CB0024 00022DA2
	v_add_u32_e32 v162, 16, v162                               // 000000005E20: 69454490
	s_nop 0                                                    // 000000005E24: BF800000
	v_cndmask_b32_e64 v30, v23, v30, s[36:37]                  // 000000005E28: D100001E 00923D17
	v_cmp_le_u32_e64 s[36:37], v163, v22                       // 000000005E30: D0CB0024 00022DA3
	v_add_u32_e32 v163, 16, v163                               // 000000005E38: 69474690
	s_nop 0                                                    // 000000005E3C: BF800000
	v_cndmask_b32_e64 v31, v23, v31, s[36:37]                  // 000000005E40: D100001F 00923F17
	v_cmp_le_u32_e64 s[36:37], v164, v22                       // 000000005E48: D0CB0024 00022DA4
	v_add_u32_e32 v164, 16, v164                               // 000000005E50: 69494890
	s_nop 0                                                    // 000000005E54: BF800000
	v_cndmask_b32_e64 v32, v23, v32, s[36:37]                  // 000000005E58: D1000020 00924117
	v_cmp_le_u32_e64 s[36:37], v165, v22                       // 000000005E60: D0CB0024 00022DA5
	v_add_u32_e32 v165, 16, v165                               // 000000005E68: 694B4A90
	s_nop 0                                                    // 000000005E6C: BF800000
	v_cndmask_b32_e64 v33, v23, v33, s[36:37]                  // 000000005E70: D1000021 00924317

0000000000005e78 <label_3A78>:
	s_add_u32 s83, s84, s83                                    // 000000005E78: 80535354
	s_nop 2                                                    // 000000005E7C: BF800002
	v_mov_b32_e32 v23, v26                                     // 000000005E80: 7E2E031A
	v_max3_f32 v23, v26, v27, v23                              // 000000005E84: D1D30017 045E371A
	v_max3_f32 v23, v28, v29, v23                              // 000000005E8C: D1D30017 045E3B1C
	v_max3_f32 v23, v30, v31, v23                              // 000000005E94: D1D30017 045E3F1E
	v_max3_f32 v23, v32, v33, v23                              // 000000005E9C: D1D30017 045E4320
	v_mov_b32_e32 v22, v23                                     // 000000005EA4: 7E2C0317
	v_mov_b32_e32 v23, v23                                     // 000000005EA8: 7E2E0317
	s_nop 1                                                    // 000000005EAC: BF800001
	v_permlane16_swap_b32_e32 v22, v23                         // 000000005EB0: 7E2CB317
	v_mov_b32_e32 v25, v22                                     // 000000005EB4: 7E320316
	v_mov_b32_e32 v24, v23                                     // 000000005EB8: 7E300317
	s_nop 1                                                    // 000000005EBC: BF800001
	v_permlane32_swap_b32_e32 v22, v23                         // 000000005EC0: 7E2CB517
	v_permlane32_swap_b32_e32 v24, v25                         // 000000005EC4: 7E30B519
	v_max3_f32 v23, v22, v23, v23                              // 000000005EC8: D1D30017 045E2F16
	v_max3_f32 v23, v24, v25, v23                              // 000000005ED0: D1D30017 045E3318
	v_mov_b32_e32 v22, 0xff800000                              // 000000005ED8: 7E2C02FF FF800000
	v_cmp_eq_u32_e64 s[36:37], v22, v2                         // 000000005EE0: D0CA0024 00020516
	v_max_f32_e32 v23, v23, v2                                 // 000000005EE8: 162E0517
	v_sub_f32_e32 v12, v2, v23                                 // 000000005EEC: 04182F02
	v_cndmask_b32_e64 v12, v12, 0, s[36:37]                    // 000000005EF0: D100000C 0091010C
	v_mov_b32_e32 v2, v23                                      // 000000005EF8: 7E040317
	v_mul_f32_e32 v23, s5, v23                                 // 000000005EFC: 0A2E2E05
	v_mul_f32_e32 v12, s5, v12                                 // 000000005F00: 0A181805
	v_exp_f32_e32 v12, v12                                     // 000000005F04: 7E18410C
	v_fma_f32 v26, v26, s5, -v23                               // 000000005F08: D1CB001A 845C0B1A
	v_fma_f32 v27, v27, s5, -v23                               // 000000005F10: D1CB001B 845C0B1B
	v_fma_f32 v28, v28, s5, -v23                               // 000000005F18: D1CB001C 845C0B1C
	v_fma_f32 v29, v29, s5, -v23                               // 000000005F20: D1CB001D 845C0B1D
	v_fma_f32 v30, v30, s5, -v23                               // 000000005F28: D1CB001E 845C0B1E
	v_fma_f32 v31, v31, s5, -v23                               // 000000005F30: D1CB001F 845C0B1F
	v_fma_f32 v32, v32, s5, -v23                               // 000000005F38: D1CB0020 845C0B20
	v_fma_f32 v33, v33, s5, -v23                               // 000000005F40: D1CB0021 845C0B21
	v_exp_f32_e32 v26, v26                                     // 000000005F48: 7E34411A
	v_exp_f32_e32 v27, v27                                     // 000000005F4C: 7E36411B
	v_exp_f32_e32 v28, v28                                     // 000000005F50: 7E38411C
	v_exp_f32_e32 v29, v29                                     // 000000005F54: 7E3A411D
	v_exp_f32_e32 v30, v30                                     // 000000005F58: 7E3C411E
	v_exp_f32_e32 v31, v31                                     // 000000005F5C: 7E3E411F
	v_exp_f32_e32 v32, v32                                     // 000000005F60: 7E404120
	v_exp_f32_e32 v33, v33                                     // 000000005F64: 7E424121
	v_mul_f32_e32 v4, v12, v4                                  // 000000005F68: 0A08090C
	v_mov_b32_e32 v22, v26                                     // 000000005F6C: 7E2C031A
	v_add_f32_e32 v22, v27, v22                                // 000000005F70: 022C2D1B
	v_add_f32_e32 v22, v28, v22                                // 000000005F74: 022C2D1C
	v_add_f32_e32 v22, v29, v22                                // 000000005F78: 022C2D1D
	v_add_f32_e32 v22, v30, v22                                // 000000005F7C: 022C2D1E
	v_add_f32_e32 v22, v31, v22                                // 000000005F80: 022C2D1F
	v_add_f32_e32 v22, v32, v22                                // 000000005F84: 022C2D20
	v_add_f32_e32 v22, v33, v22                                // 000000005F88: 022C2D21
	v_add_f32_e32 v4, v22, v4                                  // 000000005F8C: 02080916
	v_cvt_pk_bf16_f32 v26, v26, v27                            // 000000005F90: D268001A 0002371A
	v_cvt_pk_bf16_f32 v27, v28, v29                            // 000000005F98: D268001B 00023B1C
	v_cvt_pk_bf16_f32 v28, v30, v31                            // 000000005FA0: D268001C 00023F1E
	v_cvt_pk_bf16_f32 v29, v32, v33                            // 000000005FA8: D268001D 00024320
	s_nop 0                                                    // 000000005FB0: BF800000
	v_permlane32_swap_b32_e32 v26, v28                         // 000000005FB4: 7E34B51C
	v_permlane32_swap_b32_e32 v27, v29                         // 000000005FB8: 7E36B51D
	s_nop 0                                                    // 000000005FBC: BF800000
	v_permlane16_swap_b32_e32 v26, v28                         // 000000005FC0: 7E34B31C
	v_permlane16_swap_b32_e32 v27, v29                         // 000000005FC4: 7E36B31D
	v_mul_f32_e32 v34, v12, v34                                // 000000005FC8: 0A44450C
	v_mul_f32_e32 v35, v12, v35                                // 000000005FCC: 0A46470C
	v_mul_f32_e32 v36, v12, v36                                // 000000005FD0: 0A48490C
	v_mul_f32_e32 v37, v12, v37                                // 000000005FD4: 0A4A4B0C
	v_mul_f32_e32 v38, v12, v38                                // 000000005FD8: 0A4C4D0C
	v_mul_f32_e32 v39, v12, v39                                // 000000005FDC: 0A4E4F0C
	v_mul_f32_e32 v40, v12, v40                                // 000000005FE0: 0A50510C
	v_mul_f32_e32 v41, v12, v41                                // 000000005FE4: 0A52530C
	v_mul_f32_e32 v42, v12, v42                                // 000000005FE8: 0A54550C
	v_mul_f32_e32 v43, v12, v43                                // 000000005FEC: 0A56570C
	v_mul_f32_e32 v44, v12, v44                                // 000000005FF0: 0A58590C
	v_mul_f32_e32 v45, v12, v45                                // 000000005FF4: 0A5A5B0C
	v_mul_f32_e32 v46, v12, v46                                // 000000005FF8: 0A5C5D0C
	v_mul_f32_e32 v47, v12, v47                                // 000000005FFC: 0A5E5F0C
	v_mul_f32_e32 v48, v12, v48                                // 000000006000: 0A60610C
	v_mul_f32_e32 v49, v12, v49                                // 000000006004: 0A62630C
	v_mul_f32_e32 v50, v12, v50                                // 000000006008: 0A64650C
	v_mul_f32_e32 v51, v12, v51                                // 00000000600C: 0A66670C
	v_mul_f32_e32 v52, v12, v52                                // 000000006010: 0A68690C
	v_mul_f32_e32 v53, v12, v53                                // 000000006014: 0A6A6B0C
	v_mul_f32_e32 v54, v12, v54                                // 000000006018: 0A6C6D0C
	v_mul_f32_e32 v55, v12, v55                                // 00000000601C: 0A6E6F0C
	v_mul_f32_e32 v56, v12, v56                                // 000000006020: 0A70710C
	v_mul_f32_e32 v57, v12, v57                                // 000000006024: 0A72730C
	v_mul_f32_e32 v58, v12, v58                                // 000000006028: 0A74750C
	v_mul_f32_e32 v59, v12, v59                                // 00000000602C: 0A76770C
	v_mul_f32_e32 v60, v12, v60                                // 000000006030: 0A78790C
	v_mul_f32_e32 v61, v12, v61                                // 000000006034: 0A7A7B0C
	v_mul_f32_e32 v62, v12, v62                                // 000000006038: 0A7C7D0C
	v_mul_f32_e32 v63, v12, v63                                // 00000000603C: 0A7E7F0C
	v_mul_f32_e32 v64, v12, v64                                // 000000006040: 0A80810C
	v_mul_f32_e32 v65, v12, v65                                // 000000006044: 0A82830C
	v_mul_f32_e32 v66, v12, v66                                // 000000006048: 0A84850C
	v_mul_f32_e32 v67, v12, v67                                // 00000000604C: 0A86870C
	v_mul_f32_e32 v68, v12, v68                                // 000000006050: 0A88890C
	v_mul_f32_e32 v69, v12, v69                                // 000000006054: 0A8A8B0C
	v_mul_f32_e32 v70, v12, v70                                // 000000006058: 0A8C8D0C
	v_mul_f32_e32 v71, v12, v71                                // 00000000605C: 0A8E8F0C
	v_mul_f32_e32 v72, v12, v72                                // 000000006060: 0A90910C
	v_mul_f32_e32 v73, v12, v73                                // 000000006064: 0A92930C
	v_mul_f32_e32 v74, v12, v74                                // 000000006068: 0A94950C
	v_mul_f32_e32 v75, v12, v75                                // 00000000606C: 0A96970C
	v_mul_f32_e32 v76, v12, v76                                // 000000006070: 0A98990C
	v_mul_f32_e32 v77, v12, v77                                // 000000006074: 0A9A9B0C
	v_mul_f32_e32 v78, v12, v78                                // 000000006078: 0A9C9D0C
	v_mul_f32_e32 v79, v12, v79                                // 00000000607C: 0A9E9F0C
	v_mul_f32_e32 v80, v12, v80                                // 000000006080: 0AA0A10C
	v_mul_f32_e32 v81, v12, v81                                // 000000006084: 0AA2A30C
	v_mul_f32_e32 v82, v12, v82                                // 000000006088: 0AA4A50C
	v_mul_f32_e32 v83, v12, v83                                // 00000000608C: 0AA6A70C
	v_mul_f32_e32 v84, v12, v84                                // 000000006090: 0AA8A90C
	v_mul_f32_e32 v85, v12, v85                                // 000000006094: 0AAAAB0C
	v_mul_f32_e32 v86, v12, v86                                // 000000006098: 0AACAD0C
	v_mul_f32_e32 v87, v12, v87                                // 00000000609C: 0AAEAF0C
	v_mul_f32_e32 v88, v12, v88                                // 0000000060A0: 0AB0B10C
	v_mul_f32_e32 v89, v12, v89                                // 0000000060A4: 0AB2B30C
	v_mul_f32_e32 v90, v12, v90                                // 0000000060A8: 0AB4B50C
	v_mul_f32_e32 v91, v12, v91                                // 0000000060AC: 0AB6B70C
	v_mul_f32_e32 v92, v12, v92                                // 0000000060B0: 0AB8B90C
	v_mul_f32_e32 v93, v12, v93                                // 0000000060B4: 0ABABB0C
	v_mul_f32_e32 v94, v12, v94                                // 0000000060B8: 0ABCBD0C
	v_mul_f32_e32 v95, v12, v95                                // 0000000060BC: 0ABEBF0C
	v_mul_f32_e32 v96, v12, v96                                // 0000000060C0: 0AC0C10C
	v_mul_f32_e32 v97, v12, v97                                // 0000000060C4: 0AC2C30C
	v_mul_f32_e32 v98, v12, v98                                // 0000000060C8: 0AC4C50C
	v_mul_f32_e32 v99, v12, v99                                // 0000000060CC: 0AC6C70C
	v_mul_f32_e32 v100, v12, v100                              // 0000000060D0: 0AC8C90C
	v_mul_f32_e32 v101, v12, v101                              // 0000000060D4: 0ACACB0C
	v_mul_f32_e32 v102, v12, v102                              // 0000000060D8: 0ACCCD0C
	v_mul_f32_e32 v103, v12, v103                              // 0000000060DC: 0ACECF0C
	v_mul_f32_e32 v104, v12, v104                              // 0000000060E0: 0AD0D10C
	v_mul_f32_e32 v105, v12, v105                              // 0000000060E4: 0AD2D30C
	v_mul_f32_e32 v106, v12, v106                              // 0000000060E8: 0AD4D50C
	v_mul_f32_e32 v107, v12, v107                              // 0000000060EC: 0AD6D70C
	v_mul_f32_e32 v108, v12, v108                              // 0000000060F0: 0AD8D90C
	v_mul_f32_e32 v109, v12, v109                              // 0000000060F4: 0ADADB0C
	v_mul_f32_e32 v110, v12, v110                              // 0000000060F8: 0ADCDD0C
	v_mul_f32_e32 v111, v12, v111                              // 0000000060FC: 0ADEDF0C
	v_mul_f32_e32 v112, v12, v112                              // 000000006100: 0AE0E10C
	v_mul_f32_e32 v113, v12, v113                              // 000000006104: 0AE2E30C
	v_mul_f32_e32 v114, v12, v114                              // 000000006108: 0AE4E50C
	v_mul_f32_e32 v115, v12, v115                              // 00000000610C: 0AE6E70C
	v_mul_f32_e32 v116, v12, v116                              // 000000006110: 0AE8E90C
	v_mul_f32_e32 v117, v12, v117                              // 000000006114: 0AEAEB0C
	v_mul_f32_e32 v118, v12, v118                              // 000000006118: 0AECED0C
	v_mul_f32_e32 v119, v12, v119                              // 00000000611C: 0AEEEF0C
	v_mul_f32_e32 v120, v12, v120                              // 000000006120: 0AF0F10C
	v_mul_f32_e32 v121, v12, v121                              // 000000006124: 0AF2F30C
	v_mul_f32_e32 v122, v12, v122                              // 000000006128: 0AF4F50C
	v_mul_f32_e32 v123, v12, v123                              // 00000000612C: 0AF6F70C
	v_mul_f32_e32 v124, v12, v124                              // 000000006130: 0AF8F90C
	v_mul_f32_e32 v125, v12, v125                              // 000000006134: 0AFAFB0C
	v_mul_f32_e32 v126, v12, v126                              // 000000006138: 0AFCFD0C
	v_mul_f32_e32 v127, v12, v127                              // 00000000613C: 0AFEFF0C
	v_mul_f32_e32 v128, v12, v128                              // 000000006140: 0B01010C
	v_mul_f32_e32 v129, v12, v129                              // 000000006144: 0B03030C
	v_mul_f32_e32 v130, v12, v130                              // 000000006148: 0B05050C
	v_mul_f32_e32 v131, v12, v131                              // 00000000614C: 0B07070C
	v_mul_f32_e32 v132, v12, v132                              // 000000006150: 0B09090C
	v_mul_f32_e32 v133, v12, v133                              // 000000006154: 0B0B0B0C
	v_mul_f32_e32 v134, v12, v134                              // 000000006158: 0B0D0D0C
	v_mul_f32_e32 v135, v12, v135                              // 00000000615C: 0B0F0F0C
	v_mul_f32_e32 v136, v12, v136                              // 000000006160: 0B11110C
	v_mul_f32_e32 v137, v12, v137                              // 000000006164: 0B13130C
	v_mul_f32_e32 v138, v12, v138                              // 000000006168: 0B15150C
	v_mul_f32_e32 v139, v12, v139                              // 00000000616C: 0B17170C
	v_mul_f32_e32 v140, v12, v140                              // 000000006170: 0B19190C
	v_mul_f32_e32 v141, v12, v141                              // 000000006174: 0B1B1B0C
	v_mul_f32_e32 v142, v12, v142                              // 000000006178: 0B1D1D0C
	v_mul_f32_e32 v143, v12, v143                              // 00000000617C: 0B1F1F0C
	v_mul_f32_e32 v144, v12, v144                              // 000000006180: 0B21210C
	v_mul_f32_e32 v145, v12, v145                              // 000000006184: 0B23230C
	v_mul_f32_e32 v146, v12, v146                              // 000000006188: 0B25250C
	v_mul_f32_e32 v147, v12, v147                              // 00000000618C: 0B27270C
	v_mul_f32_e32 v148, v12, v148                              // 000000006190: 0B29290C
	v_mul_f32_e32 v149, v12, v149                              // 000000006194: 0B2B2B0C
	v_mul_f32_e32 v150, v12, v150                              // 000000006198: 0B2D2D0C
	v_mul_f32_e32 v151, v12, v151                              // 00000000619C: 0B2F2F0C
	v_mul_f32_e32 v152, v12, v152                              // 0000000061A0: 0B31310C
	v_mul_f32_e32 v153, v12, v153                              // 0000000061A4: 0B33330C
	v_mul_f32_e32 v154, v12, v154                              // 0000000061A8: 0B35350C
	v_mul_f32_e32 v155, v12, v155                              // 0000000061AC: 0B37370C
	v_mul_f32_e32 v156, v12, v156                              // 0000000061B0: 0B39390C
	v_mul_f32_e32 v157, v12, v157                              // 0000000061B4: 0B3B3B0C
	v_mul_f32_e32 v158, v12, v158                              // 0000000061B8: 0B3D3D0C
	v_mul_f32_e32 v159, v12, v159                              // 0000000061BC: 0B3F3F0C
	v_mul_f32_e32 v160, v12, v160                              // 0000000061C0: 0B41410C
	v_mul_f32_e32 v161, v12, v161                              // 0000000061C4: 0B43430C
	s_waitcnt lgkmcnt(0)                                       // 0000000061C8: BF8CC07F
	v_mfma_f32_16x16x32_bf16 v[34:37], a[144:147], v[26:29], v[34:37]// 0000000061CC: D3B50022 0C8A3590
	v_mfma_f32_16x16x32_bf16 v[38:41], a[148:151], v[26:29], v[38:41]// 0000000061D4: D3B50026 0C9A3594
	v_mfma_f32_16x16x32_bf16 v[42:45], a[152:155], v[26:29], v[42:45]// 0000000061DC: D3B5002A 0CAA3598
	v_mfma_f32_16x16x32_bf16 v[46:49], a[156:159], v[26:29], v[46:49]// 0000000061E4: D3B5002E 0CBA359C
	v_mfma_f32_16x16x32_bf16 v[50:53], a[160:163], v[26:29], v[50:53]// 0000000061EC: D3B50032 0CCA35A0
	v_mfma_f32_16x16x32_bf16 v[54:57], a[164:167], v[26:29], v[54:57]// 0000000061F4: D3B50036 0CDA35A4
	v_mfma_f32_16x16x32_bf16 v[58:61], a[168:171], v[26:29], v[58:61]// 0000000061FC: D3B5003A 0CEA35A8
	v_mfma_f32_16x16x32_bf16 v[62:65], a[172:175], v[26:29], v[62:65]// 000000006204: D3B5003E 0CFA35AC
	v_mfma_f32_16x16x32_bf16 v[66:69], a[176:179], v[26:29], v[66:69]// 00000000620C: D3B50042 0D0A35B0
	v_mfma_f32_16x16x32_bf16 v[70:73], a[180:183], v[26:29], v[70:73]// 000000006214: D3B50046 0D1A35B4
	v_mfma_f32_16x16x32_bf16 v[74:77], a[184:187], v[26:29], v[74:77]// 00000000621C: D3B5004A 0D2A35B8
	ds_read_b64_tr_b16 a[144:145], v10 offset:8192             // 000000006224: DBC62000 9000000A
	ds_read_b64_tr_b16 a[146:147], v10 offset:8448             // 00000000622C: DBC62100 9200000A
	ds_read_b64_tr_b16 a[148:149], v11 offset:8192             // 000000006234: DBC62000 9400000B
	ds_read_b64_tr_b16 a[150:151], v11 offset:8448             // 00000000623C: DBC62100 9600000B
	v_mfma_f32_16x16x32_bf16 v[78:81], a[188:191], v[26:29], v[78:81]// 000000006244: D3B5004E 0D3A35BC
	ds_read_b64_tr_b16 a[152:153], v10 offset:9216             // 00000000624C: DBC62400 9800000A
	ds_read_b64_tr_b16 a[154:155], v10 offset:9472             // 000000006254: DBC62500 9A00000A
	ds_read_b64_tr_b16 a[156:157], v11 offset:9216             // 00000000625C: DBC62400 9C00000B
	ds_read_b64_tr_b16 a[158:159], v11 offset:9472             // 000000006264: DBC62500 9E00000B
	v_mfma_f32_16x16x32_bf16 v[82:85], a[192:195], v[26:29], v[82:85]// 00000000626C: D3B50052 0D4A35C0
	ds_read_b64_tr_b16 a[160:161], v10 offset:10240            // 000000006274: DBC62800 A000000A
	ds_read_b64_tr_b16 a[162:163], v10 offset:10496            // 00000000627C: DBC62900 A200000A
	ds_read_b64_tr_b16 a[164:165], v11 offset:10240            // 000000006284: DBC62800 A400000B
	ds_read_b64_tr_b16 a[166:167], v11 offset:10496            // 00000000628C: DBC62900 A600000B
	v_mfma_f32_16x16x32_bf16 v[86:89], a[196:199], v[26:29], v[86:89]// 000000006294: D3B50056 0D5A35C4
	ds_read_b64_tr_b16 a[168:169], v10 offset:11264            // 00000000629C: DBC62C00 A800000A
	ds_read_b64_tr_b16 a[170:171], v10 offset:11520            // 0000000062A4: DBC62D00 AA00000A
	ds_read_b64_tr_b16 a[172:173], v11 offset:11264            // 0000000062AC: DBC62C00 AC00000B
	ds_read_b64_tr_b16 a[174:175], v11 offset:11520            // 0000000062B4: DBC62D00 AE00000B
	v_mfma_f32_16x16x32_bf16 v[90:93], a[200:203], v[26:29], v[90:93]// 0000000062BC: D3B5005A 0D6A35C8
	ds_read_b64_tr_b16 a[176:177], v10 offset:12288            // 0000000062C4: DBC63000 B000000A
	ds_read_b64_tr_b16 a[178:179], v10 offset:12544            // 0000000062CC: DBC63100 B200000A
	ds_read_b64_tr_b16 a[180:181], v11 offset:12288            // 0000000062D4: DBC63000 B400000B
	ds_read_b64_tr_b16 a[182:183], v11 offset:12544            // 0000000062DC: DBC63100 B600000B
	v_mfma_f32_16x16x32_bf16 v[94:97], a[204:207], v[26:29], v[94:97]// 0000000062E4: D3B5005E 0D7A35CC
	ds_read_b64_tr_b16 a[184:185], v10 offset:13312            // 0000000062EC: DBC63400 B800000A
	ds_read_b64_tr_b16 a[186:187], v10 offset:13568            // 0000000062F4: DBC63500 BA00000A
	ds_read_b64_tr_b16 a[188:189], v11 offset:13312            // 0000000062FC: DBC63400 BC00000B
	ds_read_b64_tr_b16 a[190:191], v11 offset:13568            // 000000006304: DBC63500 BE00000B
	ds_read_b64_tr_b16 a[192:193], v10 offset:14336            // 00000000630C: DBC63800 C000000A
	ds_read_b64_tr_b16 a[194:195], v10 offset:14592            // 000000006314: DBC63900 C200000A
	ds_read_b64_tr_b16 a[196:197], v11 offset:14336            // 00000000631C: DBC63800 C400000B
	ds_read_b64_tr_b16 a[198:199], v11 offset:14592            // 000000006324: DBC63900 C600000B
	ds_read_b64_tr_b16 a[200:201], v10 offset:15360            // 00000000632C: DBC63C00 C800000A
	ds_read_b64_tr_b16 a[202:203], v10 offset:15616            // 000000006334: DBC63D00 CA00000A
	ds_read_b64_tr_b16 a[204:205], v11 offset:15360            // 00000000633C: DBC63C00 CC00000B
	ds_read_b64_tr_b16 a[206:207], v11 offset:15616            // 000000006344: DBC63D00 CE00000B
	s_waitcnt lgkmcnt(0)                                       // 00000000634C: BF8CC07F
	v_mfma_f32_16x16x32_bf16 v[98:101], a[144:147], v[26:29], v[98:101]// 000000006350: D3B50062 0D8A3590
	v_mfma_f32_16x16x32_bf16 v[102:105], a[148:151], v[26:29], v[102:105]// 000000006358: D3B50066 0D9A3594
	v_mfma_f32_16x16x32_bf16 v[106:109], a[152:155], v[26:29], v[106:109]// 000000006360: D3B5006A 0DAA3598
	v_mfma_f32_16x16x32_bf16 v[110:113], a[156:159], v[26:29], v[110:113]// 000000006368: D3B5006E 0DBA359C
	v_mfma_f32_16x16x32_bf16 v[114:117], a[160:163], v[26:29], v[114:117]// 000000006370: D3B50072 0DCA35A0
	s_waitcnt vmcnt(10)                                        // 000000006378: BF8C0F7A
	s_barrier                                                  // 00000000637C: BF8A0000
	ds_read_b128 a[72:75], v14                                 // 000000006380: DBFE0000 4800000E
	v_mfma_f32_16x16x32_bf16 v[118:121], a[164:167], v[26:29], v[118:121]// 000000006388: D3B50076 0DDA35A4
	ds_read_b128 a[76:79], v14 offset:1024                     // 000000006390: DBFE0400 4C00000E
	v_mfma_f32_16x16x32_bf16 v[122:125], a[168:171], v[26:29], v[122:125]// 000000006398: D3B5007A 0DEA35A8
	ds_read_b128 a[80:83], v14 offset:2048                     // 0000000063A0: DBFE0800 5000000E
	v_mfma_f32_16x16x32_bf16 v[126:129], a[172:175], v[26:29], v[126:129]// 0000000063A8: D3B5007E 0DFA35AC
	ds_read_b128 a[84:87], v14 offset:3072                     // 0000000063B0: DBFE0C00 5400000E
	v_mfma_f32_16x16x32_bf16 v[130:133], a[176:179], v[26:29], v[130:133]// 0000000063B8: D3B50082 0E0A35B0
	ds_read_b128 a[88:91], v14 offset:4096                     // 0000000063C0: DBFE1000 5800000E
	v_mfma_f32_16x16x32_bf16 v[134:137], a[180:183], v[26:29], v[134:137]// 0000000063C8: D3B50086 0E1A35B4
	ds_read_b128 a[92:95], v14 offset:5120                     // 0000000063D0: DBFE1400 5C00000E
	v_mfma_f32_16x16x32_bf16 v[138:141], a[184:187], v[26:29], v[138:141]// 0000000063D8: D3B5008A 0E2A35B8
	ds_read_b128 a[96:99], v14 offset:6144                     // 0000000063E0: DBFE1800 6000000E
	v_mfma_f32_16x16x32_bf16 v[142:145], a[188:191], v[26:29], v[142:145]// 0000000063E8: D3B5008E 0E3A35BC
	ds_read_b128 a[100:103], v14 offset:7168                   // 0000000063F0: DBFE1C00 6400000E
	v_mfma_f32_16x16x32_bf16 v[146:149], a[192:195], v[26:29], v[146:149]// 0000000063F8: D3B50092 0E4A35C0
	ds_read_b128 a[104:107], v14 offset:8192                   // 000000006400: DBFE2000 6800000E
	v_mfma_f32_16x16x32_bf16 v[150:153], a[196:199], v[26:29], v[150:153]// 000000006408: D3B50096 0E5A35C4
	ds_read_b128 a[108:111], v14 offset:9216                   // 000000006410: DBFE2400 6C00000E
	v_mfma_f32_16x16x32_bf16 v[154:157], a[200:203], v[26:29], v[154:157]// 000000006418: D3B5009A 0E6A35C8
	ds_read_b128 a[112:115], v14 offset:10240                  // 000000006420: DBFE2800 7000000E
	v_mfma_f32_16x16x32_bf16 v[158:161], a[204:207], v[26:29], v[158:161]// 000000006428: D3B5009E 0E7A35CC
	ds_read_b128 a[116:119], v14 offset:11264                  // 000000006430: DBFE2C00 7400000E
	ds_read_b128 a[120:123], v14 offset:12288                  // 000000006438: DBFE3000 7800000E
	ds_read_b128 a[124:127], v14 offset:13312                  // 000000006440: DBFE3400 7C00000E
	ds_read_b128 a[128:131], v14 offset:14336                  // 000000006448: DBFE3800 8000000E
	ds_read_b128 a[132:135], v14 offset:15360                  // 000000006450: DBFE3C00 8400000E
	ds_read_b128 a[136:139], v14 offset:16384                  // 000000006458: DBFE4000 8800000E
	ds_read_b128 a[140:143], v14 offset:17408                  // 000000006460: DBFE4400 8C00000E
	s_addk_i32 s70, 0x1                                        // 000000006468: B7460001
	s_cmp_lt_i32 s70, s71                                      // 00000000646C: BF044746
	s_cbranch_scc0 label_2B90                                  // 000000006470: BF84FAC7
	s_waitcnt lgkmcnt(4)                                       // 000000006474: BF8CC47F
	v_mfma_f32_16x16x32_bf16 v[26:29], a[72:75], a[0:3], 0     // 000000006478: D3B5001A 1A020148
	v_mul_u32_u24_e64 v25, v18, s68                            // 000000006480: D1080019 00008912
	v_add_u32_e32 v25, v25, v1                                 // 000000006488: 68320319
	buffer_load_dword v17, v21, s[24:27], 0 offen              // 00000000648C: E0501000 80061115
	ds_read_b128 a[72:75], v14 offset:18432                    // 000000006494: DBFE4800 4800000E
	v_mfma_f32_16x16x32_bf16 v[26:29], a[76:79], a[4:7], v[26:29]// 00000000649C: D3B5001A 1C6A094C
	s_mov_b32 s56, 0x1d000                                     // 0000000064A4: BEB800FF 0001D000
	s_mul_i32 s57, s7, 0x2400                                  // 0000000064AC: 9239FF07 00002400
	s_add_u32 m0, s56, s57                                     // 0000000064B4: 807C3938
	buffer_load_dwordx4 v25, s[20:23], 0 offen lds             // 0000000064B8: E05D1000 80050019
	s_add_i32 m0, m0, 0x3c0                                    // 0000000064C0: 817CFF7C 000003C0
	v_mfma_f32_16x16x32_bf16 v[26:29], a[80:83], a[8:11], v[26:29]// 0000000064C8: D3B5001A 1C6A1150
	ds_read_b128 a[76:79], v14 offset:19456                    // 0000000064D0: DBFE4C00 4C00000E
	v_mfma_f32_16x16x32_bf16 v[26:29], a[84:87], a[12:15], v[26:29]// 0000000064D8: D3B5001A 1C6A1954
	buffer_load_dwordx4 v25, s[20:23], 0 offen offset:64 lds   // 0000000064E0: E05D1040 80050019
	s_add_i32 m0, m0, 0x3c0                                    // 0000000064E8: 817CFF7C 000003C0
	v_mfma_f32_16x16x32_bf16 v[26:29], a[88:91], a[16:19], v[26:29]// 0000000064F0: D3B5001A 1C6A2158
	ds_read_b128 a[80:83], v14 offset:20480                    // 0000000064F8: DBFE5000 5000000E
	v_mfma_f32_16x16x32_bf16 v[26:29], a[92:95], a[20:23], v[26:29]// 000000006500: D3B5001A 1C6A295C
	buffer_load_dwordx4 v25, s[20:23], 0 offen offset:128 lds  // 000000006508: E05D1080 80050019
	s_add_i32 m0, m0, 0x3c0                                    // 000000006510: 817CFF7C 000003C0
	v_mfma_f32_16x16x32_bf16 v[26:29], a[96:99], a[24:27], v[26:29]// 000000006518: D3B5001A 1C6A3160
	ds_read_b128 a[84:87], v14 offset:21504                    // 000000006520: DBFE5400 5400000E
	v_mfma_f32_16x16x32_bf16 v[26:29], a[100:103], a[28:31], v[26:29]// 000000006528: D3B5001A 1C6A3964
	buffer_load_dwordx4 v25, s[20:23], 0 offen offset:192 lds  // 000000006530: E05D10C0 80050019
	s_add_i32 m0, m0, 0x3c0                                    // 000000006538: 817CFF7C 000003C0
	v_mfma_f32_16x16x32_bf16 v[26:29], a[104:107], a[32:35], v[26:29]// 000000006540: D3B5001A 1C6A4168
	ds_read_b128 a[88:91], v14 offset:22528                    // 000000006548: DBFE5800 5800000E
	v_mfma_f32_16x16x32_bf16 v[26:29], a[108:111], a[36:39], v[26:29]// 000000006550: D3B5001A 1C6A496C
	buffer_load_dwordx4 v25, s[20:23], 0 offen offset:256 lds  // 000000006558: E05D1100 80050019
	s_add_i32 m0, m0, 0x3c0                                    // 000000006560: 817CFF7C 000003C0
	v_mfma_f32_16x16x32_bf16 v[26:29], a[112:115], a[40:43], v[26:29]// 000000006568: D3B5001A 1C6A5170
	ds_read_b128 a[92:95], v14 offset:23552                    // 000000006570: DBFE5C00 5C00000E
	v_mfma_f32_16x16x32_bf16 v[26:29], a[116:119], a[44:47], v[26:29]// 000000006578: D3B5001A 1C6A5974
	buffer_load_dwordx4 v25, s[20:23], 0 offen offset:320 lds  // 000000006580: E05D1140 80050019
	s_add_i32 m0, m0, 0x3c0                                    // 000000006588: 817CFF7C 000003C0
	v_mfma_f32_16x16x32_bf16 v[26:29], a[120:123], a[48:51], v[26:29]// 000000006590: D3B5001A 1C6A6178
	ds_read_b128 a[96:99], v14 offset:24576                    // 000000006598: DBFE6000 6000000E
	v_mfma_f32_16x16x32_bf16 v[26:29], a[124:127], a[52:55], v[26:29]// 0000000065A0: D3B5001A 1C6A697C
	buffer_load_dwordx4 v25, s[20:23], 0 offen offset:384 lds  // 0000000065A8: E05D1180 80050019
	s_add_i32 m0, m0, 0x3c0                                    // 0000000065B0: 817CFF7C 000003C0
	v_mfma_f32_16x16x32_bf16 v[26:29], a[128:131], a[56:59], v[26:29]// 0000000065B8: D3B5001A 1C6A7180
	ds_read_b128 a[100:103], v14 offset:25600                  // 0000000065C0: DBFE6400 6400000E
	v_mfma_f32_16x16x32_bf16 v[26:29], a[132:135], a[60:63], v[26:29]// 0000000065C8: D3B5001A 1C6A7984
	buffer_load_dwordx4 v25, s[20:23], 0 offen offset:448 lds  // 0000000065D0: E05D11C0 80050019
	s_add_i32 m0, m0, 0x3c0                                    // 0000000065D8: 817CFF7C 000003C0
	v_mfma_f32_16x16x32_bf16 v[26:29], a[136:139], a[64:67], v[26:29]// 0000000065E0: D3B5001A 1C6A8188
	ds_read_b128 a[104:107], v14 offset:26624                  // 0000000065E8: DBFE6800 6800000E
	v_mfma_f32_16x16x32_bf16 v[26:29], a[140:143], a[68:71], v[26:29]// 0000000065F0: D3B5001A 1C6A898C
	buffer_load_dwordx4 v25, s[20:23], 0 offen offset:512 lds  // 0000000065F8: E05D1200 80050019
	s_add_i32 m0, m0, 0x3c0                                    // 000000006600: 817CFF7C 000003C0
	ds_read_b128 a[108:111], v14 offset:27648                  // 000000006608: DBFE6C00 6C00000E
	ds_read_b128 a[112:115], v14 offset:28672                  // 000000006610: DBFE7000 7000000E
	ds_read_b128 a[116:119], v14 offset:29696                  // 000000006618: DBFE7400 7400000E
	ds_read_b128 a[120:123], v14 offset:30720                  // 000000006620: DBFE7800 7800000E
	ds_read_b128 a[124:127], v14 offset:31744                  // 000000006628: DBFE7C00 7C00000E
	ds_read_b128 a[128:131], v14 offset:32768                  // 000000006630: DBFE8000 8000000E
	ds_read_b128 a[132:135], v14 offset:33792                  // 000000006638: DBFE8400 8400000E
	ds_read_b128 a[136:139], v14 offset:34816                  // 000000006640: DBFE8800 8800000E
	ds_read_b128 a[140:143], v14 offset:35840                  // 000000006648: DBFE8C00 8C00000E
	v_add_u32_e32 v21, s73, v21                                // 000000006650: 682A2A49
	s_waitcnt lgkmcnt(4)                                       // 000000006654: BF8CC47F
	v_mfma_f32_16x16x32_bf16 v[30:33], a[72:75], a[0:3], 0     // 000000006658: D3B5001E 1A020148
	ds_read_b64_tr_b16 a[144:145], v6                          // 000000006660: DBC60000 90000006
	ds_read_b64_tr_b16 a[146:147], v6 offset:256               // 000000006668: DBC60100 92000006
	ds_read_b64_tr_b16 a[148:149], v7                          // 000000006670: DBC60000 94000007
	ds_read_b64_tr_b16 a[150:151], v7 offset:256               // 000000006678: DBC60100 96000007
	v_mfma_f32_16x16x32_bf16 v[30:33], a[76:79], a[4:7], v[30:33]// 000000006680: D3B5001E 1C7A094C
	v_mfma_f32_16x16x32_bf16 v[30:33], a[80:83], a[8:11], v[30:33]// 000000006688: D3B5001E 1C7A1150
	ds_read_b64_tr_b16 a[152:153], v6 offset:1024              // 000000006690: DBC60400 98000006
	ds_read_b64_tr_b16 a[154:155], v6 offset:1280              // 000000006698: DBC60500 9A000006
	ds_read_b64_tr_b16 a[156:157], v7 offset:1024              // 0000000066A0: DBC60400 9C000007
	ds_read_b64_tr_b16 a[158:159], v7 offset:1280              // 0000000066A8: DBC60500 9E000007
	v_mfma_f32_16x16x32_bf16 v[30:33], a[84:87], a[12:15], v[30:33]// 0000000066B0: D3B5001E 1C7A1954
	v_mfma_f32_16x16x32_bf16 v[30:33], a[88:91], a[16:19], v[30:33]// 0000000066B8: D3B5001E 1C7A2158
	ds_read_b64_tr_b16 a[160:161], v6 offset:2048              // 0000000066C0: DBC60800 A0000006
	ds_read_b64_tr_b16 a[162:163], v6 offset:2304              // 0000000066C8: DBC60900 A2000006
	ds_read_b64_tr_b16 a[164:165], v7 offset:2048              // 0000000066D0: DBC60800 A4000007
	ds_read_b64_tr_b16 a[166:167], v7 offset:2304              // 0000000066D8: DBC60900 A6000007
	v_mfma_f32_16x16x32_bf16 v[30:33], a[92:95], a[20:23], v[30:33]// 0000000066E0: D3B5001E 1C7A295C
	v_mfma_f32_16x16x32_bf16 v[30:33], a[96:99], a[24:27], v[30:33]// 0000000066E8: D3B5001E 1C7A3160
	ds_read_b64_tr_b16 a[168:169], v6 offset:3072              // 0000000066F0: DBC60C00 A8000006
	ds_read_b64_tr_b16 a[170:171], v6 offset:3328              // 0000000066F8: DBC60D00 AA000006
	ds_read_b64_tr_b16 a[172:173], v7 offset:3072              // 000000006700: DBC60C00 AC000007
	ds_read_b64_tr_b16 a[174:175], v7 offset:3328              // 000000006708: DBC60D00 AE000007
	v_mfma_f32_16x16x32_bf16 v[30:33], a[100:103], a[28:31], v[30:33]// 000000006710: D3B5001E 1C7A3964
	v_mfma_f32_16x16x32_bf16 v[30:33], a[104:107], a[32:35], v[30:33]// 000000006718: D3B5001E 1C7A4168
	ds_read_b64_tr_b16 a[176:177], v6 offset:4096              // 000000006720: DBC61000 B0000006
	ds_read_b64_tr_b16 a[178:179], v6 offset:4352              // 000000006728: DBC61100 B2000006
	ds_read_b64_tr_b16 a[180:181], v7 offset:4096              // 000000006730: DBC61000 B4000007
	ds_read_b64_tr_b16 a[182:183], v7 offset:4352              // 000000006738: DBC61100 B6000007
	v_mfma_f32_16x16x32_bf16 v[30:33], a[108:111], a[36:39], v[30:33]// 000000006740: D3B5001E 1C7A496C
	v_mfma_f32_16x16x32_bf16 v[30:33], a[112:115], a[40:43], v[30:33]// 000000006748: D3B5001E 1C7A5170
	ds_read_b64_tr_b16 a[184:185], v6 offset:5120              // 000000006750: DBC61400 B8000006
	ds_read_b64_tr_b16 a[186:187], v6 offset:5376              // 000000006758: DBC61500 BA000006
	ds_read_b64_tr_b16 a[188:189], v7 offset:5120              // 000000006760: DBC61400 BC000007
	ds_read_b64_tr_b16 a[190:191], v7 offset:5376              // 000000006768: DBC61500 BE000007
	v_mfma_f32_16x16x32_bf16 v[30:33], a[116:119], a[44:47], v[30:33]// 000000006770: D3B5001E 1C7A5974
	v_mfma_f32_16x16x32_bf16 v[30:33], a[120:123], a[48:51], v[30:33]// 000000006778: D3B5001E 1C7A6178
	ds_read_b64_tr_b16 a[192:193], v6 offset:6144              // 000000006780: DBC61800 C0000006
	ds_read_b64_tr_b16 a[194:195], v6 offset:6400              // 000000006788: DBC61900 C2000006
	ds_read_b64_tr_b16 a[196:197], v7 offset:6144              // 000000006790: DBC61800 C4000007
	ds_read_b64_tr_b16 a[198:199], v7 offset:6400              // 000000006798: DBC61900 C6000007
	v_mfma_f32_16x16x32_bf16 v[30:33], a[124:127], a[52:55], v[30:33]// 0000000067A0: D3B5001E 1C7A697C
	v_mfma_f32_16x16x32_bf16 v[30:33], a[128:131], a[56:59], v[30:33]// 0000000067A8: D3B5001E 1C7A7180
	ds_read_b64_tr_b16 a[200:201], v6 offset:7168              // 0000000067B0: DBC61C00 C8000006
	ds_read_b64_tr_b16 a[202:203], v6 offset:7424              // 0000000067B8: DBC61D00 CA000006
	ds_read_b64_tr_b16 a[204:205], v7 offset:7168              // 0000000067C0: DBC61C00 CC000007
	ds_read_b64_tr_b16 a[206:207], v7 offset:7424              // 0000000067C8: DBC61D00 CE000007
	v_mfma_f32_16x16x32_bf16 v[30:33], a[132:135], a[60:63], v[30:33]// 0000000067D0: D3B5001E 1C7A7984
	v_mfma_f32_16x16x32_bf16 v[30:33], a[136:139], a[64:67], v[30:33]// 0000000067D8: D3B5001E 1C7A8188
	v_mfma_f32_16x16x32_bf16 v[30:33], a[140:143], a[68:71], v[30:33]// 0000000067E0: D3B5001E 1C7A898C
	s_cmp_le_i32 s83, s82                                      // 0000000067E8: BF055253
	s_cbranch_scc1 label_44E4                                  // 0000000067EC: BF85003D
	v_mov_b32_e32 v22, s82                                     // 0000000067F0: 7E2C0252
	s_sub_u32 s58, s81, s80                                    // 0000000067F4: 80BA5051
	s_add_u32 s58, s58, s7                                     // 0000000067F8: 803A073A
	v_add_u32_e32 v22, s58, v22                                // 0000000067FC: 682C2C3A
	s_sub_u32 s56, s83, 31                                     // 000000006800: 80B89F53
	v_lshrrev_b32_e32 v162, 4, v0                              // 000000006804: 21440084
	v_mul_i32_i24_e32 v162, 4, v162                            // 000000006808: 0D454484
	v_add_u32_e32 v162, s56, v162                              // 00000000680C: 69454438
	v_add_u32_e32 v163, 1, v162                                // 000000006810: 69474481
	v_add_u32_e32 v164, 2, v162                                // 000000006814: 69494482
	v_add_u32_e32 v165, 3, v162                                // 000000006818: 694B4483
	v_mov_b32_e32 v23, 0xff800000                              // 00000000681C: 7E2E02FF FF800000
	v_cmp_le_u32_e64 s[36:37], v162, v22                       // 000000006824: D0CB0024 00022DA2
	v_add_u32_e32 v162, 16, v162                               // 00000000682C: 69454490
	s_nop 0                                                    // 000000006830: BF800000
	v_cndmask_b32_e64 v26, v23, v26, s[36:37]                  // 000000006834: D100001A 00923517
	v_cmp_le_u32_e64 s[36:37], v163, v22                       // 00000000683C: D0CB0024 00022DA3
	v_add_u32_e32 v163, 16, v163                               // 000000006844: 69474690
	s_nop 0                                                    // 000000006848: BF800000
	v_cndmask_b32_e64 v27, v23, v27, s[36:37]                  // 00000000684C: D100001B 00923717
	v_cmp_le_u32_e64 s[36:37], v164, v22                       // 000000006854: D0CB0024 00022DA4
	v_add_u32_e32 v164, 16, v164                               // 00000000685C: 69494890
	s_nop 0                                                    // 000000006860: BF800000
	v_cndmask_b32_e64 v28, v23, v28, s[36:37]                  // 000000006864: D100001C 00923917
	v_cmp_le_u32_e64 s[36:37], v165, v22                       // 00000000686C: D0CB0024 00022DA5
	v_add_u32_e32 v165, 16, v165                               // 000000006874: 694B4A90
	s_nop 0                                                    // 000000006878: BF800000
	v_cndmask_b32_e64 v29, v23, v29, s[36:37]                  // 00000000687C: D100001D 00923B17
	v_cmp_le_u32_e64 s[36:37], v162, v22                       // 000000006884: D0CB0024 00022DA2
	v_add_u32_e32 v162, 16, v162                               // 00000000688C: 69454490
	s_nop 0                                                    // 000000006890: BF800000
	v_cndmask_b32_e64 v30, v23, v30, s[36:37]                  // 000000006894: D100001E 00923D17
	v_cmp_le_u32_e64 s[36:37], v163, v22                       // 00000000689C: D0CB0024 00022DA3
	v_add_u32_e32 v163, 16, v163                               // 0000000068A4: 69474690
	s_nop 0                                                    // 0000000068A8: BF800000
	v_cndmask_b32_e64 v31, v23, v31, s[36:37]                  // 0000000068AC: D100001F 00923F17
	v_cmp_le_u32_e64 s[36:37], v164, v22                       // 0000000068B4: D0CB0024 00022DA4
	v_add_u32_e32 v164, 16, v164                               // 0000000068BC: 69494890
	s_nop 0                                                    // 0000000068C0: BF800000
	v_cndmask_b32_e64 v32, v23, v32, s[36:37]                  // 0000000068C4: D1000020 00924117
	v_cmp_le_u32_e64 s[36:37], v165, v22                       // 0000000068CC: D0CB0024 00022DA5
	v_add_u32_e32 v165, 16, v165                               // 0000000068D4: 694B4A90
	s_nop 0                                                    // 0000000068D8: BF800000
	v_cndmask_b32_e64 v33, v23, v33, s[36:37]                  // 0000000068DC: D1000021 00924317

00000000000068e4 <label_44E4>:
	s_add_u32 s83, s84, s83                                    // 0000000068E4: 80535354
	s_nop 2                                                    // 0000000068E8: BF800002
	v_mov_b32_e32 v23, v26                                     // 0000000068EC: 7E2E031A
	v_max3_f32 v23, v26, v27, v23                              // 0000000068F0: D1D30017 045E371A
	v_max3_f32 v23, v28, v29, v23                              // 0000000068F8: D1D30017 045E3B1C
	v_max3_f32 v23, v30, v31, v23                              // 000000006900: D1D30017 045E3F1E
	v_max3_f32 v23, v32, v33, v23                              // 000000006908: D1D30017 045E4320
	v_mov_b32_e32 v22, v23                                     // 000000006910: 7E2C0317
	v_mov_b32_e32 v23, v23                                     // 000000006914: 7E2E0317
	s_nop 1                                                    // 000000006918: BF800001
	v_permlane16_swap_b32_e32 v22, v23                         // 00000000691C: 7E2CB317
	v_mov_b32_e32 v25, v22                                     // 000000006920: 7E320316
	v_mov_b32_e32 v24, v23                                     // 000000006924: 7E300317
	s_nop 1                                                    // 000000006928: BF800001
	v_permlane32_swap_b32_e32 v22, v23                         // 00000000692C: 7E2CB517
	v_permlane32_swap_b32_e32 v24, v25                         // 000000006930: 7E30B519
	v_max3_f32 v23, v22, v23, v23                              // 000000006934: D1D30017 045E2F16
	v_max3_f32 v23, v24, v25, v23                              // 00000000693C: D1D30017 045E3318
	v_mov_b32_e32 v22, 0xff800000                              // 000000006944: 7E2C02FF FF800000
	v_cmp_eq_u32_e64 s[36:37], v22, v2                         // 00000000694C: D0CA0024 00020516
	v_max_f32_e32 v23, v23, v2                                 // 000000006954: 162E0517
	v_sub_f32_e32 v12, v2, v23                                 // 000000006958: 04182F02
	v_cndmask_b32_e64 v12, v12, 0, s[36:37]                    // 00000000695C: D100000C 0091010C
	v_mov_b32_e32 v2, v23                                      // 000000006964: 7E040317
	v_mul_f32_e32 v23, s5, v23                                 // 000000006968: 0A2E2E05
	v_mul_f32_e32 v12, s5, v12                                 // 00000000696C: 0A181805
	v_exp_f32_e32 v12, v12                                     // 000000006970: 7E18410C
	v_fma_f32 v26, v26, s5, -v23                               // 000000006974: D1CB001A 845C0B1A
	v_fma_f32 v27, v27, s5, -v23                               // 00000000697C: D1CB001B 845C0B1B
	v_fma_f32 v28, v28, s5, -v23                               // 000000006984: D1CB001C 845C0B1C
	v_fma_f32 v29, v29, s5, -v23                               // 00000000698C: D1CB001D 845C0B1D
	v_fma_f32 v30, v30, s5, -v23                               // 000000006994: D1CB001E 845C0B1E
	v_fma_f32 v31, v31, s5, -v23                               // 00000000699C: D1CB001F 845C0B1F
	v_fma_f32 v32, v32, s5, -v23                               // 0000000069A4: D1CB0020 845C0B20
	v_fma_f32 v33, v33, s5, -v23                               // 0000000069AC: D1CB0021 845C0B21
	v_exp_f32_e32 v26, v26                                     // 0000000069B4: 7E34411A
	v_exp_f32_e32 v27, v27                                     // 0000000069B8: 7E36411B
	v_exp_f32_e32 v28, v28                                     // 0000000069BC: 7E38411C
	v_exp_f32_e32 v29, v29                                     // 0000000069C0: 7E3A411D
	v_exp_f32_e32 v30, v30                                     // 0000000069C4: 7E3C411E
	v_exp_f32_e32 v31, v31                                     // 0000000069C8: 7E3E411F
	v_exp_f32_e32 v32, v32                                     // 0000000069CC: 7E404120
	v_exp_f32_e32 v33, v33                                     // 0000000069D0: 7E424121
	v_mul_f32_e32 v4, v12, v4                                  // 0000000069D4: 0A08090C
	v_mov_b32_e32 v22, v26                                     // 0000000069D8: 7E2C031A
	v_add_f32_e32 v22, v27, v22                                // 0000000069DC: 022C2D1B
	v_add_f32_e32 v22, v28, v22                                // 0000000069E0: 022C2D1C
	v_add_f32_e32 v22, v29, v22                                // 0000000069E4: 022C2D1D
	v_add_f32_e32 v22, v30, v22                                // 0000000069E8: 022C2D1E
	v_add_f32_e32 v22, v31, v22                                // 0000000069EC: 022C2D1F
	v_add_f32_e32 v22, v32, v22                                // 0000000069F0: 022C2D20
	v_add_f32_e32 v22, v33, v22                                // 0000000069F4: 022C2D21
	v_add_f32_e32 v4, v22, v4                                  // 0000000069F8: 02080916
	v_cvt_pk_bf16_f32 v26, v26, v27                            // 0000000069FC: D268001A 0002371A
	v_cvt_pk_bf16_f32 v27, v28, v29                            // 000000006A04: D268001B 00023B1C
	v_cvt_pk_bf16_f32 v28, v30, v31                            // 000000006A0C: D268001C 00023F1E
	v_cvt_pk_bf16_f32 v29, v32, v33                            // 000000006A14: D268001D 00024320
	s_nop 0                                                    // 000000006A1C: BF800000
	v_permlane32_swap_b32_e32 v26, v28                         // 000000006A20: 7E34B51C
	v_permlane32_swap_b32_e32 v27, v29                         // 000000006A24: 7E36B51D
	s_nop 0                                                    // 000000006A28: BF800000
	v_permlane16_swap_b32_e32 v26, v28                         // 000000006A2C: 7E34B31C
	v_permlane16_swap_b32_e32 v27, v29                         // 000000006A30: 7E36B31D
	v_mul_f32_e32 v34, v12, v34                                // 000000006A34: 0A44450C
	v_mul_f32_e32 v35, v12, v35                                // 000000006A38: 0A46470C
	v_mul_f32_e32 v36, v12, v36                                // 000000006A3C: 0A48490C
	v_mul_f32_e32 v37, v12, v37                                // 000000006A40: 0A4A4B0C
	v_mul_f32_e32 v38, v12, v38                                // 000000006A44: 0A4C4D0C
	v_mul_f32_e32 v39, v12, v39                                // 000000006A48: 0A4E4F0C
	v_mul_f32_e32 v40, v12, v40                                // 000000006A4C: 0A50510C
	v_mul_f32_e32 v41, v12, v41                                // 000000006A50: 0A52530C
	v_mul_f32_e32 v42, v12, v42                                // 000000006A54: 0A54550C
	v_mul_f32_e32 v43, v12, v43                                // 000000006A58: 0A56570C
	v_mul_f32_e32 v44, v12, v44                                // 000000006A5C: 0A58590C
	v_mul_f32_e32 v45, v12, v45                                // 000000006A60: 0A5A5B0C
	v_mul_f32_e32 v46, v12, v46                                // 000000006A64: 0A5C5D0C
	v_mul_f32_e32 v47, v12, v47                                // 000000006A68: 0A5E5F0C
	v_mul_f32_e32 v48, v12, v48                                // 000000006A6C: 0A60610C
	v_mul_f32_e32 v49, v12, v49                                // 000000006A70: 0A62630C
	v_mul_f32_e32 v50, v12, v50                                // 000000006A74: 0A64650C
	v_mul_f32_e32 v51, v12, v51                                // 000000006A78: 0A66670C
	v_mul_f32_e32 v52, v12, v52                                // 000000006A7C: 0A68690C
	v_mul_f32_e32 v53, v12, v53                                // 000000006A80: 0A6A6B0C
	v_mul_f32_e32 v54, v12, v54                                // 000000006A84: 0A6C6D0C
	v_mul_f32_e32 v55, v12, v55                                // 000000006A88: 0A6E6F0C
	v_mul_f32_e32 v56, v12, v56                                // 000000006A8C: 0A70710C
	v_mul_f32_e32 v57, v12, v57                                // 000000006A90: 0A72730C
	v_mul_f32_e32 v58, v12, v58                                // 000000006A94: 0A74750C
	v_mul_f32_e32 v59, v12, v59                                // 000000006A98: 0A76770C
	v_mul_f32_e32 v60, v12, v60                                // 000000006A9C: 0A78790C
	v_mul_f32_e32 v61, v12, v61                                // 000000006AA0: 0A7A7B0C
	v_mul_f32_e32 v62, v12, v62                                // 000000006AA4: 0A7C7D0C
	v_mul_f32_e32 v63, v12, v63                                // 000000006AA8: 0A7E7F0C
	v_mul_f32_e32 v64, v12, v64                                // 000000006AAC: 0A80810C
	v_mul_f32_e32 v65, v12, v65                                // 000000006AB0: 0A82830C
	v_mul_f32_e32 v66, v12, v66                                // 000000006AB4: 0A84850C
	v_mul_f32_e32 v67, v12, v67                                // 000000006AB8: 0A86870C
	v_mul_f32_e32 v68, v12, v68                                // 000000006ABC: 0A88890C
	v_mul_f32_e32 v69, v12, v69                                // 000000006AC0: 0A8A8B0C
	v_mul_f32_e32 v70, v12, v70                                // 000000006AC4: 0A8C8D0C
	v_mul_f32_e32 v71, v12, v71                                // 000000006AC8: 0A8E8F0C
	v_mul_f32_e32 v72, v12, v72                                // 000000006ACC: 0A90910C
	v_mul_f32_e32 v73, v12, v73                                // 000000006AD0: 0A92930C
	v_mul_f32_e32 v74, v12, v74                                // 000000006AD4: 0A94950C
	v_mul_f32_e32 v75, v12, v75                                // 000000006AD8: 0A96970C
	v_mul_f32_e32 v76, v12, v76                                // 000000006ADC: 0A98990C
	v_mul_f32_e32 v77, v12, v77                                // 000000006AE0: 0A9A9B0C
	v_mul_f32_e32 v78, v12, v78                                // 000000006AE4: 0A9C9D0C
	v_mul_f32_e32 v79, v12, v79                                // 000000006AE8: 0A9E9F0C
	v_mul_f32_e32 v80, v12, v80                                // 000000006AEC: 0AA0A10C
	v_mul_f32_e32 v81, v12, v81                                // 000000006AF0: 0AA2A30C
	v_mul_f32_e32 v82, v12, v82                                // 000000006AF4: 0AA4A50C
	v_mul_f32_e32 v83, v12, v83                                // 000000006AF8: 0AA6A70C
	v_mul_f32_e32 v84, v12, v84                                // 000000006AFC: 0AA8A90C
	v_mul_f32_e32 v85, v12, v85                                // 000000006B00: 0AAAAB0C
	v_mul_f32_e32 v86, v12, v86                                // 000000006B04: 0AACAD0C
	v_mul_f32_e32 v87, v12, v87                                // 000000006B08: 0AAEAF0C
	v_mul_f32_e32 v88, v12, v88                                // 000000006B0C: 0AB0B10C
	v_mul_f32_e32 v89, v12, v89                                // 000000006B10: 0AB2B30C
	v_mul_f32_e32 v90, v12, v90                                // 000000006B14: 0AB4B50C
	v_mul_f32_e32 v91, v12, v91                                // 000000006B18: 0AB6B70C
	v_mul_f32_e32 v92, v12, v92                                // 000000006B1C: 0AB8B90C
	v_mul_f32_e32 v93, v12, v93                                // 000000006B20: 0ABABB0C
	v_mul_f32_e32 v94, v12, v94                                // 000000006B24: 0ABCBD0C
	v_mul_f32_e32 v95, v12, v95                                // 000000006B28: 0ABEBF0C
	v_mul_f32_e32 v96, v12, v96                                // 000000006B2C: 0AC0C10C
	v_mul_f32_e32 v97, v12, v97                                // 000000006B30: 0AC2C30C
	v_mul_f32_e32 v98, v12, v98                                // 000000006B34: 0AC4C50C
	v_mul_f32_e32 v99, v12, v99                                // 000000006B38: 0AC6C70C
	v_mul_f32_e32 v100, v12, v100                              // 000000006B3C: 0AC8C90C
	v_mul_f32_e32 v101, v12, v101                              // 000000006B40: 0ACACB0C
	v_mul_f32_e32 v102, v12, v102                              // 000000006B44: 0ACCCD0C
	v_mul_f32_e32 v103, v12, v103                              // 000000006B48: 0ACECF0C
	v_mul_f32_e32 v104, v12, v104                              // 000000006B4C: 0AD0D10C
	v_mul_f32_e32 v105, v12, v105                              // 000000006B50: 0AD2D30C
	v_mul_f32_e32 v106, v12, v106                              // 000000006B54: 0AD4D50C
	v_mul_f32_e32 v107, v12, v107                              // 000000006B58: 0AD6D70C
	v_mul_f32_e32 v108, v12, v108                              // 000000006B5C: 0AD8D90C
	v_mul_f32_e32 v109, v12, v109                              // 000000006B60: 0ADADB0C
	v_mul_f32_e32 v110, v12, v110                              // 000000006B64: 0ADCDD0C
	v_mul_f32_e32 v111, v12, v111                              // 000000006B68: 0ADEDF0C
	v_mul_f32_e32 v112, v12, v112                              // 000000006B6C: 0AE0E10C
	v_mul_f32_e32 v113, v12, v113                              // 000000006B70: 0AE2E30C
	v_mul_f32_e32 v114, v12, v114                              // 000000006B74: 0AE4E50C
	v_mul_f32_e32 v115, v12, v115                              // 000000006B78: 0AE6E70C
	v_mul_f32_e32 v116, v12, v116                              // 000000006B7C: 0AE8E90C
	v_mul_f32_e32 v117, v12, v117                              // 000000006B80: 0AEAEB0C
	v_mul_f32_e32 v118, v12, v118                              // 000000006B84: 0AECED0C
	v_mul_f32_e32 v119, v12, v119                              // 000000006B88: 0AEEEF0C
	v_mul_f32_e32 v120, v12, v120                              // 000000006B8C: 0AF0F10C
	v_mul_f32_e32 v121, v12, v121                              // 000000006B90: 0AF2F30C
	v_mul_f32_e32 v122, v12, v122                              // 000000006B94: 0AF4F50C
	v_mul_f32_e32 v123, v12, v123                              // 000000006B98: 0AF6F70C
	v_mul_f32_e32 v124, v12, v124                              // 000000006B9C: 0AF8F90C
	v_mul_f32_e32 v125, v12, v125                              // 000000006BA0: 0AFAFB0C
	v_mul_f32_e32 v126, v12, v126                              // 000000006BA4: 0AFCFD0C
	v_mul_f32_e32 v127, v12, v127                              // 000000006BA8: 0AFEFF0C
	v_mul_f32_e32 v128, v12, v128                              // 000000006BAC: 0B01010C
	v_mul_f32_e32 v129, v12, v129                              // 000000006BB0: 0B03030C
	v_mul_f32_e32 v130, v12, v130                              // 000000006BB4: 0B05050C
	v_mul_f32_e32 v131, v12, v131                              // 000000006BB8: 0B07070C
	v_mul_f32_e32 v132, v12, v132                              // 000000006BBC: 0B09090C
	v_mul_f32_e32 v133, v12, v133                              // 000000006BC0: 0B0B0B0C
	v_mul_f32_e32 v134, v12, v134                              // 000000006BC4: 0B0D0D0C
	v_mul_f32_e32 v135, v12, v135                              // 000000006BC8: 0B0F0F0C
	v_mul_f32_e32 v136, v12, v136                              // 000000006BCC: 0B11110C
	v_mul_f32_e32 v137, v12, v137                              // 000000006BD0: 0B13130C
	v_mul_f32_e32 v138, v12, v138                              // 000000006BD4: 0B15150C
	v_mul_f32_e32 v139, v12, v139                              // 000000006BD8: 0B17170C
	v_mul_f32_e32 v140, v12, v140                              // 000000006BDC: 0B19190C
	v_mul_f32_e32 v141, v12, v141                              // 000000006BE0: 0B1B1B0C
	v_mul_f32_e32 v142, v12, v142                              // 000000006BE4: 0B1D1D0C
	v_mul_f32_e32 v143, v12, v143                              // 000000006BE8: 0B1F1F0C
	v_mul_f32_e32 v144, v12, v144                              // 000000006BEC: 0B21210C
	v_mul_f32_e32 v145, v12, v145                              // 000000006BF0: 0B23230C
	v_mul_f32_e32 v146, v12, v146                              // 000000006BF4: 0B25250C
	v_mul_f32_e32 v147, v12, v147                              // 000000006BF8: 0B27270C
	v_mul_f32_e32 v148, v12, v148                              // 000000006BFC: 0B29290C
	v_mul_f32_e32 v149, v12, v149                              // 000000006C00: 0B2B2B0C
	v_mul_f32_e32 v150, v12, v150                              // 000000006C04: 0B2D2D0C
	v_mul_f32_e32 v151, v12, v151                              // 000000006C08: 0B2F2F0C
	v_mul_f32_e32 v152, v12, v152                              // 000000006C0C: 0B31310C
	v_mul_f32_e32 v153, v12, v153                              // 000000006C10: 0B33330C
	v_mul_f32_e32 v154, v12, v154                              // 000000006C14: 0B35350C
	v_mul_f32_e32 v155, v12, v155                              // 000000006C18: 0B37370C
	v_mul_f32_e32 v156, v12, v156                              // 000000006C1C: 0B39390C
	v_mul_f32_e32 v157, v12, v157                              // 000000006C20: 0B3B3B0C
	v_mul_f32_e32 v158, v12, v158                              // 000000006C24: 0B3D3D0C
	v_mul_f32_e32 v159, v12, v159                              // 000000006C28: 0B3F3F0C
	v_mul_f32_e32 v160, v12, v160                              // 000000006C2C: 0B41410C
	v_mul_f32_e32 v161, v12, v161                              // 000000006C30: 0B43430C
	s_waitcnt lgkmcnt(0)                                       // 000000006C34: BF8CC07F
	v_mfma_f32_16x16x32_bf16 v[34:37], a[144:147], v[26:29], v[34:37]// 000000006C38: D3B50022 0C8A3590
	v_mfma_f32_16x16x32_bf16 v[38:41], a[148:151], v[26:29], v[38:41]// 000000006C40: D3B50026 0C9A3594
	v_mfma_f32_16x16x32_bf16 v[42:45], a[152:155], v[26:29], v[42:45]// 000000006C48: D3B5002A 0CAA3598
	v_mfma_f32_16x16x32_bf16 v[46:49], a[156:159], v[26:29], v[46:49]// 000000006C50: D3B5002E 0CBA359C
	v_mfma_f32_16x16x32_bf16 v[50:53], a[160:163], v[26:29], v[50:53]// 000000006C58: D3B50032 0CCA35A0
	v_mfma_f32_16x16x32_bf16 v[54:57], a[164:167], v[26:29], v[54:57]// 000000006C60: D3B50036 0CDA35A4
	v_mfma_f32_16x16x32_bf16 v[58:61], a[168:171], v[26:29], v[58:61]// 000000006C68: D3B5003A 0CEA35A8
	v_mfma_f32_16x16x32_bf16 v[62:65], a[172:175], v[26:29], v[62:65]// 000000006C70: D3B5003E 0CFA35AC
	v_mfma_f32_16x16x32_bf16 v[66:69], a[176:179], v[26:29], v[66:69]// 000000006C78: D3B50042 0D0A35B0
	v_mfma_f32_16x16x32_bf16 v[70:73], a[180:183], v[26:29], v[70:73]// 000000006C80: D3B50046 0D1A35B4
	v_mfma_f32_16x16x32_bf16 v[74:77], a[184:187], v[26:29], v[74:77]// 000000006C88: D3B5004A 0D2A35B8
	ds_read_b64_tr_b16 a[144:145], v6 offset:8192              // 000000006C90: DBC62000 90000006
	ds_read_b64_tr_b16 a[146:147], v6 offset:8448              // 000000006C98: DBC62100 92000006
	ds_read_b64_tr_b16 a[148:149], v7 offset:8192              // 000000006CA0: DBC62000 94000007
	ds_read_b64_tr_b16 a[150:151], v7 offset:8448              // 000000006CA8: DBC62100 96000007
	v_mfma_f32_16x16x32_bf16 v[78:81], a[188:191], v[26:29], v[78:81]// 000000006CB0: D3B5004E 0D3A35BC
	ds_read_b64_tr_b16 a[152:153], v6 offset:9216              // 000000006CB8: DBC62400 98000006
	ds_read_b64_tr_b16 a[154:155], v6 offset:9472              // 000000006CC0: DBC62500 9A000006
	ds_read_b64_tr_b16 a[156:157], v7 offset:9216              // 000000006CC8: DBC62400 9C000007
	ds_read_b64_tr_b16 a[158:159], v7 offset:9472              // 000000006CD0: DBC62500 9E000007
	v_mfma_f32_16x16x32_bf16 v[82:85], a[192:195], v[26:29], v[82:85]// 000000006CD8: D3B50052 0D4A35C0
	ds_read_b64_tr_b16 a[160:161], v6 offset:10240             // 000000006CE0: DBC62800 A0000006
	ds_read_b64_tr_b16 a[162:163], v6 offset:10496             // 000000006CE8: DBC62900 A2000006
	ds_read_b64_tr_b16 a[164:165], v7 offset:10240             // 000000006CF0: DBC62800 A4000007
	ds_read_b64_tr_b16 a[166:167], v7 offset:10496             // 000000006CF8: DBC62900 A6000007
	v_mfma_f32_16x16x32_bf16 v[86:89], a[196:199], v[26:29], v[86:89]// 000000006D00: D3B50056 0D5A35C4
	ds_read_b64_tr_b16 a[168:169], v6 offset:11264             // 000000006D08: DBC62C00 A8000006
	ds_read_b64_tr_b16 a[170:171], v6 offset:11520             // 000000006D10: DBC62D00 AA000006
	ds_read_b64_tr_b16 a[172:173], v7 offset:11264             // 000000006D18: DBC62C00 AC000007
	ds_read_b64_tr_b16 a[174:175], v7 offset:11520             // 000000006D20: DBC62D00 AE000007
	v_mfma_f32_16x16x32_bf16 v[90:93], a[200:203], v[26:29], v[90:93]// 000000006D28: D3B5005A 0D6A35C8
	ds_read_b64_tr_b16 a[176:177], v6 offset:12288             // 000000006D30: DBC63000 B0000006
	ds_read_b64_tr_b16 a[178:179], v6 offset:12544             // 000000006D38: DBC63100 B2000006
	ds_read_b64_tr_b16 a[180:181], v7 offset:12288             // 000000006D40: DBC63000 B4000007
	ds_read_b64_tr_b16 a[182:183], v7 offset:12544             // 000000006D48: DBC63100 B6000007
	v_mfma_f32_16x16x32_bf16 v[94:97], a[204:207], v[26:29], v[94:97]// 000000006D50: D3B5005E 0D7A35CC
	ds_read_b64_tr_b16 a[184:185], v6 offset:13312             // 000000006D58: DBC63400 B8000006
	ds_read_b64_tr_b16 a[186:187], v6 offset:13568             // 000000006D60: DBC63500 BA000006
	ds_read_b64_tr_b16 a[188:189], v7 offset:13312             // 000000006D68: DBC63400 BC000007
	ds_read_b64_tr_b16 a[190:191], v7 offset:13568             // 000000006D70: DBC63500 BE000007
	ds_read_b64_tr_b16 a[192:193], v6 offset:14336             // 000000006D78: DBC63800 C0000006
	ds_read_b64_tr_b16 a[194:195], v6 offset:14592             // 000000006D80: DBC63900 C2000006
	ds_read_b64_tr_b16 a[196:197], v7 offset:14336             // 000000006D88: DBC63800 C4000007
	ds_read_b64_tr_b16 a[198:199], v7 offset:14592             // 000000006D90: DBC63900 C6000007
	ds_read_b64_tr_b16 a[200:201], v6 offset:15360             // 000000006D98: DBC63C00 C8000006
	ds_read_b64_tr_b16 a[202:203], v6 offset:15616             // 000000006DA0: DBC63D00 CA000006
	ds_read_b64_tr_b16 a[204:205], v7 offset:15360             // 000000006DA8: DBC63C00 CC000007
	ds_read_b64_tr_b16 a[206:207], v7 offset:15616             // 000000006DB0: DBC63D00 CE000007
	s_waitcnt lgkmcnt(0)                                       // 000000006DB8: BF8CC07F
	v_mfma_f32_16x16x32_bf16 v[98:101], a[144:147], v[26:29], v[98:101]// 000000006DBC: D3B50062 0D8A3590
	v_mfma_f32_16x16x32_bf16 v[102:105], a[148:151], v[26:29], v[102:105]// 000000006DC4: D3B50066 0D9A3594
	v_mfma_f32_16x16x32_bf16 v[106:109], a[152:155], v[26:29], v[106:109]// 000000006DCC: D3B5006A 0DAA3598
	v_mfma_f32_16x16x32_bf16 v[110:113], a[156:159], v[26:29], v[110:113]// 000000006DD4: D3B5006E 0DBA359C
	v_mfma_f32_16x16x32_bf16 v[114:117], a[160:163], v[26:29], v[114:117]// 000000006DDC: D3B50072 0DCA35A0
	s_waitcnt vmcnt(10)                                        // 000000006DE4: BF8C0F7A
	s_barrier                                                  // 000000006DE8: BF8A0000
	ds_read_b128 a[72:75], v15                                 // 000000006DEC: DBFE0000 4800000F
	v_mfma_f32_16x16x32_bf16 v[118:121], a[164:167], v[26:29], v[118:121]// 000000006DF4: D3B50076 0DDA35A4
	ds_read_b128 a[76:79], v15 offset:1024                     // 000000006DFC: DBFE0400 4C00000F
	v_mfma_f32_16x16x32_bf16 v[122:125], a[168:171], v[26:29], v[122:125]// 000000006E04: D3B5007A 0DEA35A8
	ds_read_b128 a[80:83], v15 offset:2048                     // 000000006E0C: DBFE0800 5000000F
	v_mfma_f32_16x16x32_bf16 v[126:129], a[172:175], v[26:29], v[126:129]// 000000006E14: D3B5007E 0DFA35AC
	ds_read_b128 a[84:87], v15 offset:3072                     // 000000006E1C: DBFE0C00 5400000F
	v_mfma_f32_16x16x32_bf16 v[130:133], a[176:179], v[26:29], v[130:133]// 000000006E24: D3B50082 0E0A35B0
	ds_read_b128 a[88:91], v15 offset:4096                     // 000000006E2C: DBFE1000 5800000F
	v_mfma_f32_16x16x32_bf16 v[134:137], a[180:183], v[26:29], v[134:137]// 000000006E34: D3B50086 0E1A35B4
	ds_read_b128 a[92:95], v15 offset:5120                     // 000000006E3C: DBFE1400 5C00000F
	v_mfma_f32_16x16x32_bf16 v[138:141], a[184:187], v[26:29], v[138:141]// 000000006E44: D3B5008A 0E2A35B8
	ds_read_b128 a[96:99], v15 offset:6144                     // 000000006E4C: DBFE1800 6000000F
	v_mfma_f32_16x16x32_bf16 v[142:145], a[188:191], v[26:29], v[142:145]// 000000006E54: D3B5008E 0E3A35BC
	ds_read_b128 a[100:103], v15 offset:7168                   // 000000006E5C: DBFE1C00 6400000F
	v_mfma_f32_16x16x32_bf16 v[146:149], a[192:195], v[26:29], v[146:149]// 000000006E64: D3B50092 0E4A35C0
	ds_read_b128 a[104:107], v15 offset:8192                   // 000000006E6C: DBFE2000 6800000F
	v_mfma_f32_16x16x32_bf16 v[150:153], a[196:199], v[26:29], v[150:153]// 000000006E74: D3B50096 0E5A35C4
	ds_read_b128 a[108:111], v15 offset:9216                   // 000000006E7C: DBFE2400 6C00000F
	v_mfma_f32_16x16x32_bf16 v[154:157], a[200:203], v[26:29], v[154:157]// 000000006E84: D3B5009A 0E6A35C8
	ds_read_b128 a[112:115], v15 offset:10240                  // 000000006E8C: DBFE2800 7000000F
	v_mfma_f32_16x16x32_bf16 v[158:161], a[204:207], v[26:29], v[158:161]// 000000006E94: D3B5009E 0E7A35CC
	ds_read_b128 a[116:119], v15 offset:11264                  // 000000006E9C: DBFE2C00 7400000F
	ds_read_b128 a[120:123], v15 offset:12288                  // 000000006EA4: DBFE3000 7800000F
	ds_read_b128 a[124:127], v15 offset:13312                  // 000000006EAC: DBFE3400 7C00000F
	ds_read_b128 a[128:131], v15 offset:14336                  // 000000006EB4: DBFE3800 8000000F
	ds_read_b128 a[132:135], v15 offset:15360                  // 000000006EBC: DBFE3C00 8400000F
	ds_read_b128 a[136:139], v15 offset:16384                  // 000000006EC4: DBFE4000 8800000F
	ds_read_b128 a[140:143], v15 offset:17408                  // 000000006ECC: DBFE4400 8C00000F
	s_addk_i32 s70, 0x1                                        // 000000006ED4: B7460001
	s_cmp_lt_i32 s70, s71                                      // 000000006ED8: BF044746
	s_cbranch_scc0 label_2B90                                  // 000000006EDC: BF84F82C
	s_branch label_2B9C                                        // 000000006EE0: BF82F82E

0000000000006ee4 <label_4AE4>:
	s_cmp_eq_i32 s48, 0                                        // 000000006EE4: BF008030
	s_cbranch_scc1 label_6B80                                  // 000000006EE8: BF8507A3

0000000000006eec <label_4AEC>:
	s_mov_b32 s37, 3                                           // 000000006EEC: BEA50083
	s_mov_b32 s36, s71                                         // 000000006EF0: BEA40047
	v_cvt_f32_u32_e32 v22, s37                                 // 000000006EF4: 7E2C0C25
	s_sub_i32 s56, 0, s37                                      // 000000006EF8: 81B82580
	v_rcp_iflag_f32_e32 v22, v22                               // 000000006EFC: 7E2C4716
	s_nop 0                                                    // 000000006F00: BF800000
	v_mul_f32_e32 v22, 0x4f7ffffe, v22                         // 000000006F04: 0A2C2CFF 4F7FFFFE
	v_cvt_u32_f32_e32 v22, v22                                 // 000000006F0C: 7E2C0F16
	v_mul_lo_u32 v23, s56, v22                                 // 000000006F10: D2850017 00022C38
	v_mul_hi_u32 v23, v22, v23                                 // 000000006F18: D2860017 00022F16
	v_add_u32_e32 v22, v22, v23                                // 000000006F20: 682C2F16
	v_mul_hi_u32 v22, s36, v22                                 // 000000006F24: D2860016 00022C24
	v_mul_lo_u32 v23, v22, s37                                 // 000000006F2C: D2850017 00004B16
	v_sub_u32_e32 v25, s36, v23                                // 000000006F34: 6A322E24
	v_add_u32_e32 v24, 1, v22                                  // 000000006F38: 68302C81
	v_cmp_le_u32_e32 vcc, s37, v25                             // 000000006F3C: 7D963225
	v_subrev_u32_e32 v23, s37, v25                             // 000000006F40: 6C2E3225
	s_nop 0                                                    // 000000006F44: BF800000
	v_cndmask_b32_e32 v22, v22, v24, vcc                       // 000000006F48: 002C3116
	v_cndmask_b32_e32 v25, v25, v23, vcc                       // 000000006F4C: 00322F19
	v_add_u32_e32 v23, 1, v22                                  // 000000006F50: 682E2C81
	v_cmp_le_u32_e32 vcc, s37, v25                             // 000000006F54: 7D963225
	s_nop 1                                                    // 000000006F58: BF800001
	v_cndmask_b32_e32 v25, v22, v23, vcc                       // 000000006F5C: 00322F16
	s_nop 3                                                    // 000000006F60: BF800003
	v_readfirstlane_b32 s38, v25                               // 000000006F64: 7E4C0519
	s_nop 3                                                    // 000000006F68: BF800003
	s_mul_i32 s56, s38, 3                                      // 000000006F6C: 92388326
	s_sub_u32 s56, s71, s56                                    // 000000006F70: 80B83847
	s_cmp_eq_i32 s56, 1                                        // 000000006F74: BF008138
	s_cbranch_scc1 label_5F7C                                  // 000000006F78: BF850500
	s_cmp_eq_i32 s56, 0                                        // 000000006F7C: BF008038
	s_cbranch_scc1 label_5580                                  // 000000006F80: BF85027F
	s_waitcnt lgkmcnt(10)                                      // 000000006F84: BF8CCA7F
	v_mfma_f32_16x16x32_bf16 v[26:29], a[72:75], a[0:3], 0     // 000000006F88: D3B5001A 1A020148
	ds_read_b128 a[72:75], v14 offset:18432                    // 000000006F90: DBFE4800 4800000E
	v_mfma_f32_16x16x32_bf16 v[26:29], a[76:79], a[4:7], v[26:29]// 000000006F98: D3B5001A 1C6A094C
	ds_read_b128 a[76:79], v14 offset:19456                    // 000000006FA0: DBFE4C00 4C00000E
	v_mfma_f32_16x16x32_bf16 v[26:29], a[80:83], a[8:11], v[26:29]// 000000006FA8: D3B5001A 1C6A1150
	ds_read_b128 a[80:83], v14 offset:20480                    // 000000006FB0: DBFE5000 5000000E
	v_mfma_f32_16x16x32_bf16 v[26:29], a[84:87], a[12:15], v[26:29]// 000000006FB8: D3B5001A 1C6A1954
	ds_read_b128 a[84:87], v14 offset:21504                    // 000000006FC0: DBFE5400 5400000E
	v_mfma_f32_16x16x32_bf16 v[26:29], a[88:91], a[16:19], v[26:29]// 000000006FC8: D3B5001A 1C6A2158
	ds_read_b128 a[88:91], v14 offset:22528                    // 000000006FD0: DBFE5800 5800000E
	v_mfma_f32_16x16x32_bf16 v[26:29], a[92:95], a[20:23], v[26:29]// 000000006FD8: D3B5001A 1C6A295C
	ds_read_b128 a[92:95], v14 offset:23552                    // 000000006FE0: DBFE5C00 5C00000E
	v_mfma_f32_16x16x32_bf16 v[26:29], a[96:99], a[24:27], v[26:29]// 000000006FE8: D3B5001A 1C6A3160
	ds_read_b128 a[96:99], v14 offset:24576                    // 000000006FF0: DBFE6000 6000000E
	v_mfma_f32_16x16x32_bf16 v[26:29], a[100:103], a[28:31], v[26:29]// 000000006FF8: D3B5001A 1C6A3964
	ds_read_b128 a[100:103], v14 offset:25600                  // 000000007000: DBFE6400 6400000E
	v_mfma_f32_16x16x32_bf16 v[26:29], a[104:107], a[32:35], v[26:29]// 000000007008: D3B5001A 1C6A4168
	ds_read_b128 a[104:107], v14 offset:26624                  // 000000007010: DBFE6800 6800000E
	v_mfma_f32_16x16x32_bf16 v[26:29], a[108:111], a[36:39], v[26:29]// 000000007018: D3B5001A 1C6A496C
	ds_read_b128 a[108:111], v14 offset:27648                  // 000000007020: DBFE6C00 6C00000E
	v_mfma_f32_16x16x32_bf16 v[26:29], a[112:115], a[40:43], v[26:29]// 000000007028: D3B5001A 1C6A5170
	ds_read_b128 a[112:115], v14 offset:28672                  // 000000007030: DBFE7000 7000000E
	v_mfma_f32_16x16x32_bf16 v[26:29], a[116:119], a[44:47], v[26:29]// 000000007038: D3B5001A 1C6A5974
	ds_read_b128 a[116:119], v14 offset:29696                  // 000000007040: DBFE7400 7400000E
	v_mfma_f32_16x16x32_bf16 v[26:29], a[120:123], a[48:51], v[26:29]// 000000007048: D3B5001A 1C6A6178
	ds_read_b128 a[120:123], v14 offset:30720                  // 000000007050: DBFE7800 7800000E
	v_mfma_f32_16x16x32_bf16 v[26:29], a[124:127], a[52:55], v[26:29]// 000000007058: D3B5001A 1C6A697C
	ds_read_b128 a[124:127], v14 offset:31744                  // 000000007060: DBFE7C00 7C00000E
	v_mfma_f32_16x16x32_bf16 v[26:29], a[128:131], a[56:59], v[26:29]// 000000007068: D3B5001A 1C6A7180
	ds_read_b128 a[128:131], v14 offset:32768                  // 000000007070: DBFE8000 8000000E
	v_mfma_f32_16x16x32_bf16 v[26:29], a[132:135], a[60:63], v[26:29]// 000000007078: D3B5001A 1C6A7984
	ds_read_b128 a[132:135], v14 offset:33792                  // 000000007080: DBFE8400 8400000E
	v_mfma_f32_16x16x32_bf16 v[26:29], a[136:139], a[64:67], v[26:29]// 000000007088: D3B5001A 1C6A8188
	ds_read_b128 a[136:139], v14 offset:34816                  // 000000007090: DBFE8800 8800000E
	v_mfma_f32_16x16x32_bf16 v[26:29], a[140:143], a[68:71], v[26:29]// 000000007098: D3B5001A 1C6A898C
	ds_read_b128 a[140:143], v14 offset:35840                  // 0000000070A0: DBFE8C00 8C00000E
	s_waitcnt lgkmcnt(10)                                      // 0000000070A8: BF8CCA7F
	v_mfma_f32_16x16x32_bf16 v[30:33], a[72:75], a[0:3], 0     // 0000000070AC: D3B5001E 1A020148
	ds_read_b64_tr_b16 a[144:145], v6                          // 0000000070B4: DBC60000 90000006
	ds_read_b64_tr_b16 a[146:147], v6 offset:256               // 0000000070BC: DBC60100 92000006
	ds_read_b64_tr_b16 a[148:149], v7                          // 0000000070C4: DBC60000 94000007
	ds_read_b64_tr_b16 a[150:151], v7 offset:256               // 0000000070CC: DBC60100 96000007
	v_mfma_f32_16x16x32_bf16 v[30:33], a[76:79], a[4:7], v[30:33]// 0000000070D4: D3B5001E 1C7A094C
	ds_read_b64_tr_b16 a[152:153], v6 offset:1024              // 0000000070DC: DBC60400 98000006
	ds_read_b64_tr_b16 a[154:155], v6 offset:1280              // 0000000070E4: DBC60500 9A000006
	ds_read_b64_tr_b16 a[156:157], v7 offset:1024              // 0000000070EC: DBC60400 9C000007
	ds_read_b64_tr_b16 a[158:159], v7 offset:1280              // 0000000070F4: DBC60500 9E000007
	v_mfma_f32_16x16x32_bf16 v[30:33], a[80:83], a[8:11], v[30:33]// 0000000070FC: D3B5001E 1C7A1150
	ds_read_b64_tr_b16 a[160:161], v6 offset:2048              // 000000007104: DBC60800 A0000006
	ds_read_b64_tr_b16 a[162:163], v6 offset:2304              // 00000000710C: DBC60900 A2000006
	ds_read_b64_tr_b16 a[164:165], v7 offset:2048              // 000000007114: DBC60800 A4000007
	ds_read_b64_tr_b16 a[166:167], v7 offset:2304              // 00000000711C: DBC60900 A6000007
	v_mfma_f32_16x16x32_bf16 v[30:33], a[84:87], a[12:15], v[30:33]// 000000007124: D3B5001E 1C7A1954
	ds_read_b64_tr_b16 a[168:169], v6 offset:3072              // 00000000712C: DBC60C00 A8000006
	ds_read_b64_tr_b16 a[170:171], v6 offset:3328              // 000000007134: DBC60D00 AA000006
	ds_read_b64_tr_b16 a[172:173], v7 offset:3072              // 00000000713C: DBC60C00 AC000007
	ds_read_b64_tr_b16 a[174:175], v7 offset:3328              // 000000007144: DBC60D00 AE000007
	v_mfma_f32_16x16x32_bf16 v[30:33], a[88:91], a[16:19], v[30:33]// 00000000714C: D3B5001E 1C7A2158
	ds_read_b64_tr_b16 a[176:177], v6 offset:4096              // 000000007154: DBC61000 B0000006
	ds_read_b64_tr_b16 a[178:179], v6 offset:4352              // 00000000715C: DBC61100 B2000006
	ds_read_b64_tr_b16 a[180:181], v7 offset:4096              // 000000007164: DBC61000 B4000007
	ds_read_b64_tr_b16 a[182:183], v7 offset:4352              // 00000000716C: DBC61100 B6000007
	v_mfma_f32_16x16x32_bf16 v[30:33], a[92:95], a[20:23], v[30:33]// 000000007174: D3B5001E 1C7A295C
	ds_read_b64_tr_b16 a[184:185], v6 offset:5120              // 00000000717C: DBC61400 B8000006
	ds_read_b64_tr_b16 a[186:187], v6 offset:5376              // 000000007184: DBC61500 BA000006
	ds_read_b64_tr_b16 a[188:189], v7 offset:5120              // 00000000718C: DBC61400 BC000007
	ds_read_b64_tr_b16 a[190:191], v7 offset:5376              // 000000007194: DBC61500 BE000007
	v_mfma_f32_16x16x32_bf16 v[30:33], a[96:99], a[24:27], v[30:33]// 00000000719C: D3B5001E 1C7A3160
	ds_read_b64_tr_b16 a[192:193], v6 offset:6144              // 0000000071A4: DBC61800 C0000006
	ds_read_b64_tr_b16 a[194:195], v6 offset:6400              // 0000000071AC: DBC61900 C2000006
	ds_read_b64_tr_b16 a[196:197], v7 offset:6144              // 0000000071B4: DBC61800 C4000007
	ds_read_b64_tr_b16 a[198:199], v7 offset:6400              // 0000000071BC: DBC61900 C6000007
	v_mfma_f32_16x16x32_bf16 v[30:33], a[100:103], a[28:31], v[30:33]// 0000000071C4: D3B5001E 1C7A3964
	ds_read_b64_tr_b16 a[200:201], v6 offset:7168              // 0000000071CC: DBC61C00 C8000006
	ds_read_b64_tr_b16 a[202:203], v6 offset:7424              // 0000000071D4: DBC61D00 CA000006
	ds_read_b64_tr_b16 a[204:205], v7 offset:7168              // 0000000071DC: DBC61C00 CC000007
	ds_read_b64_tr_b16 a[206:207], v7 offset:7424              // 0000000071E4: DBC61D00 CE000007
	v_mfma_f32_16x16x32_bf16 v[30:33], a[104:107], a[32:35], v[30:33]// 0000000071EC: D3B5001E 1C7A4168
	v_mfma_f32_16x16x32_bf16 v[30:33], a[108:111], a[36:39], v[30:33]// 0000000071F4: D3B5001E 1C7A496C
	v_mfma_f32_16x16x32_bf16 v[30:33], a[112:115], a[40:43], v[30:33]// 0000000071FC: D3B5001E 1C7A5170
	v_mfma_f32_16x16x32_bf16 v[30:33], a[116:119], a[44:47], v[30:33]// 000000007204: D3B5001E 1C7A5974
	v_mfma_f32_16x16x32_bf16 v[30:33], a[120:123], a[48:51], v[30:33]// 00000000720C: D3B5001E 1C7A6178
	v_mfma_f32_16x16x32_bf16 v[30:33], a[124:127], a[52:55], v[30:33]// 000000007214: D3B5001E 1C7A697C
	v_mfma_f32_16x16x32_bf16 v[30:33], a[128:131], a[56:59], v[30:33]// 00000000721C: D3B5001E 1C7A7180
	v_mfma_f32_16x16x32_bf16 v[30:33], a[132:135], a[60:63], v[30:33]// 000000007224: D3B5001E 1C7A7984
	v_mfma_f32_16x16x32_bf16 v[30:33], a[136:139], a[64:67], v[30:33]// 00000000722C: D3B5001E 1C7A8188
	v_mfma_f32_16x16x32_bf16 v[30:33], a[140:143], a[68:71], v[30:33]// 000000007234: D3B5001E 1C7A898C
	s_nop 8                                                    // 00000000723C: BF800008
	s_and_b32 s56, s48, 0xff                                   // 000000007240: 8638FF30 000000FF
	v_mov_b32_e32 v23, s56                                     // 000000007248: 7E2E0238
	v_lshrrev_b32_e32 v162, 4, v0                              // 00000000724C: 21440084
	v_mul_i32_i24_e32 v162, 4, v162                            // 000000007250: 0D454484
	v_add_u32_e32 v163, 1, v162                                // 000000007254: 69474481
	v_add_u32_e32 v164, 2, v162                                // 000000007258: 69494482
	v_add_u32_e32 v165, 3, v162                                // 00000000725C: 694B4483
	v_mov_b32_e32 v22, 0xff800000                              // 000000007260: 7E2C02FF FF800000
	v_cmp_lt_u32_e64 s[36:37], v162, v23                       // 000000007268: D0C90024 00022FA2
	v_add_u32_e32 v162, 16, v162                               // 000000007270: 69454490
	s_nop 0                                                    // 000000007274: BF800000
	v_cndmask_b32_e64 v26, v22, v26, s[36:37]                  // 000000007278: D100001A 00923516
	v_cmp_lt_u32_e64 s[36:37], v163, v23                       // 000000007280: D0C90024 00022FA3
	v_add_u32_e32 v163, 16, v163                               // 000000007288: 69474690
	s_nop 0                                                    // 00000000728C: BF800000
	v_cndmask_b32_e64 v27, v22, v27, s[36:37]                  // 000000007290: D100001B 00923716
	v_cmp_lt_u32_e64 s[36:37], v164, v23                       // 000000007298: D0C90024 00022FA4
	v_add_u32_e32 v164, 16, v164                               // 0000000072A0: 69494890
	s_nop 0                                                    // 0000000072A4: BF800000
	v_cndmask_b32_e64 v28, v22, v28, s[36:37]                  // 0000000072A8: D100001C 00923916
	v_cmp_lt_u32_e64 s[36:37], v165, v23                       // 0000000072B0: D0C90024 00022FA5
	v_add_u32_e32 v165, 16, v165                               // 0000000072B8: 694B4A90
	s_nop 0                                                    // 0000000072BC: BF800000
	v_cndmask_b32_e64 v29, v22, v29, s[36:37]                  // 0000000072C0: D100001D 00923B16
	v_cmp_lt_u32_e64 s[36:37], v162, v23                       // 0000000072C8: D0C90024 00022FA2
	v_add_u32_e32 v162, 16, v162                               // 0000000072D0: 69454490
	s_nop 0                                                    // 0000000072D4: BF800000
	v_cndmask_b32_e64 v30, v22, v30, s[36:37]                  // 0000000072D8: D100001E 00923D16
	v_cmp_lt_u32_e64 s[36:37], v163, v23                       // 0000000072E0: D0C90024 00022FA3
	v_add_u32_e32 v163, 16, v163                               // 0000000072E8: 69474690
	s_nop 0                                                    // 0000000072EC: BF800000
	v_cndmask_b32_e64 v31, v22, v31, s[36:37]                  // 0000000072F0: D100001F 00923F16
	v_cmp_lt_u32_e64 s[36:37], v164, v23                       // 0000000072F8: D0C90024 00022FA4
	v_add_u32_e32 v164, 16, v164                               // 000000007300: 69494890
	s_nop 0                                                    // 000000007304: BF800000
	v_cndmask_b32_e64 v32, v22, v32, s[36:37]                  // 000000007308: D1000020 00924116
	v_cmp_lt_u32_e64 s[36:37], v165, v23                       // 000000007310: D0C90024 00022FA5
	v_add_u32_e32 v165, 16, v165                               // 000000007318: 694B4A90
	s_nop 0                                                    // 00000000731C: BF800000
	v_cndmask_b32_e64 v33, v22, v33, s[36:37]                  // 000000007320: D1000021 00924316
	s_cmp_le_i32 s83, s82                                      // 000000007328: BF055253
	s_cbranch_scc1 label_5024                                  // 00000000732C: BF85003D
	v_mov_b32_e32 v22, s82                                     // 000000007330: 7E2C0252
	s_sub_u32 s58, s81, s80                                    // 000000007334: 80BA5051
	s_add_u32 s58, s58, s7                                     // 000000007338: 803A073A
	v_add_u32_e32 v22, s58, v22                                // 00000000733C: 682C2C3A
	s_sub_u32 s56, s83, 31                                     // 000000007340: 80B89F53
	v_lshrrev_b32_e32 v162, 4, v0                              // 000000007344: 21440084
	v_mul_i32_i24_e32 v162, 4, v162                            // 000000007348: 0D454484
	v_add_u32_e32 v162, s56, v162                              // 00000000734C: 69454438
	v_add_u32_e32 v163, 1, v162                                // 000000007350: 69474481
	v_add_u32_e32 v164, 2, v162                                // 000000007354: 69494482
	v_add_u32_e32 v165, 3, v162                                // 000000007358: 694B4483
	v_mov_b32_e32 v23, 0xff800000                              // 00000000735C: 7E2E02FF FF800000
	v_cmp_le_u32_e64 s[36:37], v162, v22                       // 000000007364: D0CB0024 00022DA2
	v_add_u32_e32 v162, 16, v162                               // 00000000736C: 69454490
	s_nop 0                                                    // 000000007370: BF800000
	v_cndmask_b32_e64 v26, v23, v26, s[36:37]                  // 000000007374: D100001A 00923517
	v_cmp_le_u32_e64 s[36:37], v163, v22                       // 00000000737C: D0CB0024 00022DA3
	v_add_u32_e32 v163, 16, v163                               // 000000007384: 69474690
	s_nop 0                                                    // 000000007388: BF800000
	v_cndmask_b32_e64 v27, v23, v27, s[36:37]                  // 00000000738C: D100001B 00923717
	v_cmp_le_u32_e64 s[36:37], v164, v22                       // 000000007394: D0CB0024 00022DA4
	v_add_u32_e32 v164, 16, v164                               // 00000000739C: 69494890
	s_nop 0                                                    // 0000000073A0: BF800000
	v_cndmask_b32_e64 v28, v23, v28, s[36:37]                  // 0000000073A4: D100001C 00923917
	v_cmp_le_u32_e64 s[36:37], v165, v22                       // 0000000073AC: D0CB0024 00022DA5
	v_add_u32_e32 v165, 16, v165                               // 0000000073B4: 694B4A90
	s_nop 0                                                    // 0000000073B8: BF800000
	v_cndmask_b32_e64 v29, v23, v29, s[36:37]                  // 0000000073BC: D100001D 00923B17
	v_cmp_le_u32_e64 s[36:37], v162, v22                       // 0000000073C4: D0CB0024 00022DA2
	v_add_u32_e32 v162, 16, v162                               // 0000000073CC: 69454490
	s_nop 0                                                    // 0000000073D0: BF800000
	v_cndmask_b32_e64 v30, v23, v30, s[36:37]                  // 0000000073D4: D100001E 00923D17
	v_cmp_le_u32_e64 s[36:37], v163, v22                       // 0000000073DC: D0CB0024 00022DA3
	v_add_u32_e32 v163, 16, v163                               // 0000000073E4: 69474690
	s_nop 0                                                    // 0000000073E8: BF800000
	v_cndmask_b32_e64 v31, v23, v31, s[36:37]                  // 0000000073EC: D100001F 00923F17
	v_cmp_le_u32_e64 s[36:37], v164, v22                       // 0000000073F4: D0CB0024 00022DA4
	v_add_u32_e32 v164, 16, v164                               // 0000000073FC: 69494890
	s_nop 0                                                    // 000000007400: BF800000
	v_cndmask_b32_e64 v32, v23, v32, s[36:37]                  // 000000007404: D1000020 00924117
	v_cmp_le_u32_e64 s[36:37], v165, v22                       // 00000000740C: D0CB0024 00022DA5
	v_add_u32_e32 v165, 16, v165                               // 000000007414: 694B4A90
	s_nop 0                                                    // 000000007418: BF800000
	v_cndmask_b32_e64 v33, v23, v33, s[36:37]                  // 00000000741C: D1000021 00924317

0000000000007424 <label_5024>:
	s_add_u32 s83, s84, s83                                    // 000000007424: 80535354
	s_nop 2                                                    // 000000007428: BF800002
	v_mov_b32_e32 v23, v26                                     // 00000000742C: 7E2E031A
	v_max3_f32 v23, v26, v27, v23                              // 000000007430: D1D30017 045E371A
	v_max3_f32 v23, v28, v29, v23                              // 000000007438: D1D30017 045E3B1C
	v_max3_f32 v23, v30, v31, v23                              // 000000007440: D1D30017 045E3F1E
	v_max3_f32 v23, v32, v33, v23                              // 000000007448: D1D30017 045E4320
	v_mov_b32_e32 v22, v23                                     // 000000007450: 7E2C0317
	v_mov_b32_e32 v23, v23                                     // 000000007454: 7E2E0317
	s_nop 1                                                    // 000000007458: BF800001
	v_permlane16_swap_b32_e32 v22, v23                         // 00000000745C: 7E2CB317
	v_mov_b32_e32 v25, v22                                     // 000000007460: 7E320316
	v_mov_b32_e32 v24, v23                                     // 000000007464: 7E300317
	s_nop 1                                                    // 000000007468: BF800001
	v_permlane32_swap_b32_e32 v22, v23                         // 00000000746C: 7E2CB517
	v_permlane32_swap_b32_e32 v24, v25                         // 000000007470: 7E30B519
	v_max3_f32 v23, v22, v23, v23                              // 000000007474: D1D30017 045E2F16
	v_max3_f32 v23, v24, v25, v23                              // 00000000747C: D1D30017 045E3318
	v_mov_b32_e32 v22, 0xff800000                              // 000000007484: 7E2C02FF FF800000
	v_cmp_eq_u32_e64 s[36:37], v22, v2                         // 00000000748C: D0CA0024 00020516
	v_max_f32_e32 v23, v23, v2                                 // 000000007494: 162E0517
	v_sub_f32_e32 v12, v2, v23                                 // 000000007498: 04182F02
	v_cndmask_b32_e64 v12, v12, 0, s[36:37]                    // 00000000749C: D100000C 0091010C
	v_mov_b32_e32 v2, v23                                      // 0000000074A4: 7E040317
	v_mul_f32_e32 v23, s5, v23                                 // 0000000074A8: 0A2E2E05
	v_mul_f32_e32 v12, s5, v12                                 // 0000000074AC: 0A181805
	v_exp_f32_e32 v12, v12                                     // 0000000074B0: 7E18410C
	v_fma_f32 v26, v26, s5, -v23                               // 0000000074B4: D1CB001A 845C0B1A
	v_fma_f32 v27, v27, s5, -v23                               // 0000000074BC: D1CB001B 845C0B1B
	v_fma_f32 v28, v28, s5, -v23                               // 0000000074C4: D1CB001C 845C0B1C
	v_fma_f32 v29, v29, s5, -v23                               // 0000000074CC: D1CB001D 845C0B1D
	v_fma_f32 v30, v30, s5, -v23                               // 0000000074D4: D1CB001E 845C0B1E
	v_fma_f32 v31, v31, s5, -v23                               // 0000000074DC: D1CB001F 845C0B1F
	v_fma_f32 v32, v32, s5, -v23                               // 0000000074E4: D1CB0020 845C0B20
	v_fma_f32 v33, v33, s5, -v23                               // 0000000074EC: D1CB0021 845C0B21
	v_exp_f32_e32 v26, v26                                     // 0000000074F4: 7E34411A
	v_exp_f32_e32 v27, v27                                     // 0000000074F8: 7E36411B
	v_exp_f32_e32 v28, v28                                     // 0000000074FC: 7E38411C
	v_exp_f32_e32 v29, v29                                     // 000000007500: 7E3A411D
	v_exp_f32_e32 v30, v30                                     // 000000007504: 7E3C411E
	v_exp_f32_e32 v31, v31                                     // 000000007508: 7E3E411F
	v_exp_f32_e32 v32, v32                                     // 00000000750C: 7E404120
	v_exp_f32_e32 v33, v33                                     // 000000007510: 7E424121
	v_mul_f32_e32 v4, v12, v4                                  // 000000007514: 0A08090C
	v_mov_b32_e32 v22, v26                                     // 000000007518: 7E2C031A
	v_add_f32_e32 v22, v27, v22                                // 00000000751C: 022C2D1B
	v_add_f32_e32 v22, v28, v22                                // 000000007520: 022C2D1C
	v_add_f32_e32 v22, v29, v22                                // 000000007524: 022C2D1D
	v_add_f32_e32 v22, v30, v22                                // 000000007528: 022C2D1E
	v_add_f32_e32 v22, v31, v22                                // 00000000752C: 022C2D1F
	v_add_f32_e32 v22, v32, v22                                // 000000007530: 022C2D20
	v_add_f32_e32 v22, v33, v22                                // 000000007534: 022C2D21
	v_add_f32_e32 v4, v22, v4                                  // 000000007538: 02080916
	v_cvt_pk_bf16_f32 v26, v26, v27                            // 00000000753C: D268001A 0002371A
	v_cvt_pk_bf16_f32 v27, v28, v29                            // 000000007544: D268001B 00023B1C
	v_cvt_pk_bf16_f32 v28, v30, v31                            // 00000000754C: D268001C 00023F1E
	v_cvt_pk_bf16_f32 v29, v32, v33                            // 000000007554: D268001D 00024320
	s_nop 0                                                    // 00000000755C: BF800000
	v_permlane32_swap_b32_e32 v26, v28                         // 000000007560: 7E34B51C
	v_permlane32_swap_b32_e32 v27, v29                         // 000000007564: 7E36B51D
	s_nop 0                                                    // 000000007568: BF800000
	v_permlane16_swap_b32_e32 v26, v28                         // 00000000756C: 7E34B31C
	v_permlane16_swap_b32_e32 v27, v29                         // 000000007570: 7E36B31D
	v_mul_f32_e32 v34, v12, v34                                // 000000007574: 0A44450C
	v_mul_f32_e32 v35, v12, v35                                // 000000007578: 0A46470C
	v_mul_f32_e32 v36, v12, v36                                // 00000000757C: 0A48490C
	v_mul_f32_e32 v37, v12, v37                                // 000000007580: 0A4A4B0C
	v_mul_f32_e32 v38, v12, v38                                // 000000007584: 0A4C4D0C
	v_mul_f32_e32 v39, v12, v39                                // 000000007588: 0A4E4F0C
	v_mul_f32_e32 v40, v12, v40                                // 00000000758C: 0A50510C
	v_mul_f32_e32 v41, v12, v41                                // 000000007590: 0A52530C
	v_mul_f32_e32 v42, v12, v42                                // 000000007594: 0A54550C
	v_mul_f32_e32 v43, v12, v43                                // 000000007598: 0A56570C
	v_mul_f32_e32 v44, v12, v44                                // 00000000759C: 0A58590C
	v_mul_f32_e32 v45, v12, v45                                // 0000000075A0: 0A5A5B0C
	v_mul_f32_e32 v46, v12, v46                                // 0000000075A4: 0A5C5D0C
	v_mul_f32_e32 v47, v12, v47                                // 0000000075A8: 0A5E5F0C
	v_mul_f32_e32 v48, v12, v48                                // 0000000075AC: 0A60610C
	v_mul_f32_e32 v49, v12, v49                                // 0000000075B0: 0A62630C
	v_mul_f32_e32 v50, v12, v50                                // 0000000075B4: 0A64650C
	v_mul_f32_e32 v51, v12, v51                                // 0000000075B8: 0A66670C
	v_mul_f32_e32 v52, v12, v52                                // 0000000075BC: 0A68690C
	v_mul_f32_e32 v53, v12, v53                                // 0000000075C0: 0A6A6B0C
	v_mul_f32_e32 v54, v12, v54                                // 0000000075C4: 0A6C6D0C
	v_mul_f32_e32 v55, v12, v55                                // 0000000075C8: 0A6E6F0C
	v_mul_f32_e32 v56, v12, v56                                // 0000000075CC: 0A70710C
	v_mul_f32_e32 v57, v12, v57                                // 0000000075D0: 0A72730C
	v_mul_f32_e32 v58, v12, v58                                // 0000000075D4: 0A74750C
	v_mul_f32_e32 v59, v12, v59                                // 0000000075D8: 0A76770C
	v_mul_f32_e32 v60, v12, v60                                // 0000000075DC: 0A78790C
	v_mul_f32_e32 v61, v12, v61                                // 0000000075E0: 0A7A7B0C
	v_mul_f32_e32 v62, v12, v62                                // 0000000075E4: 0A7C7D0C
	v_mul_f32_e32 v63, v12, v63                                // 0000000075E8: 0A7E7F0C
	v_mul_f32_e32 v64, v12, v64                                // 0000000075EC: 0A80810C
	v_mul_f32_e32 v65, v12, v65                                // 0000000075F0: 0A82830C
	v_mul_f32_e32 v66, v12, v66                                // 0000000075F4: 0A84850C
	v_mul_f32_e32 v67, v12, v67                                // 0000000075F8: 0A86870C
	v_mul_f32_e32 v68, v12, v68                                // 0000000075FC: 0A88890C
	v_mul_f32_e32 v69, v12, v69                                // 000000007600: 0A8A8B0C
	v_mul_f32_e32 v70, v12, v70                                // 000000007604: 0A8C8D0C
	v_mul_f32_e32 v71, v12, v71                                // 000000007608: 0A8E8F0C
	v_mul_f32_e32 v72, v12, v72                                // 00000000760C: 0A90910C
	v_mul_f32_e32 v73, v12, v73                                // 000000007610: 0A92930C
	v_mul_f32_e32 v74, v12, v74                                // 000000007614: 0A94950C
	v_mul_f32_e32 v75, v12, v75                                // 000000007618: 0A96970C
	v_mul_f32_e32 v76, v12, v76                                // 00000000761C: 0A98990C
	v_mul_f32_e32 v77, v12, v77                                // 000000007620: 0A9A9B0C
	v_mul_f32_e32 v78, v12, v78                                // 000000007624: 0A9C9D0C
	v_mul_f32_e32 v79, v12, v79                                // 000000007628: 0A9E9F0C
	v_mul_f32_e32 v80, v12, v80                                // 00000000762C: 0AA0A10C
	v_mul_f32_e32 v81, v12, v81                                // 000000007630: 0AA2A30C
	v_mul_f32_e32 v82, v12, v82                                // 000000007634: 0AA4A50C
	v_mul_f32_e32 v83, v12, v83                                // 000000007638: 0AA6A70C
	v_mul_f32_e32 v84, v12, v84                                // 00000000763C: 0AA8A90C
	v_mul_f32_e32 v85, v12, v85                                // 000000007640: 0AAAAB0C
	v_mul_f32_e32 v86, v12, v86                                // 000000007644: 0AACAD0C
	v_mul_f32_e32 v87, v12, v87                                // 000000007648: 0AAEAF0C
	v_mul_f32_e32 v88, v12, v88                                // 00000000764C: 0AB0B10C
	v_mul_f32_e32 v89, v12, v89                                // 000000007650: 0AB2B30C
	v_mul_f32_e32 v90, v12, v90                                // 000000007654: 0AB4B50C
	v_mul_f32_e32 v91, v12, v91                                // 000000007658: 0AB6B70C
	v_mul_f32_e32 v92, v12, v92                                // 00000000765C: 0AB8B90C
	v_mul_f32_e32 v93, v12, v93                                // 000000007660: 0ABABB0C
	v_mul_f32_e32 v94, v12, v94                                // 000000007664: 0ABCBD0C
	v_mul_f32_e32 v95, v12, v95                                // 000000007668: 0ABEBF0C
	v_mul_f32_e32 v96, v12, v96                                // 00000000766C: 0AC0C10C
	v_mul_f32_e32 v97, v12, v97                                // 000000007670: 0AC2C30C
	v_mul_f32_e32 v98, v12, v98                                // 000000007674: 0AC4C50C
	v_mul_f32_e32 v99, v12, v99                                // 000000007678: 0AC6C70C
	v_mul_f32_e32 v100, v12, v100                              // 00000000767C: 0AC8C90C
	v_mul_f32_e32 v101, v12, v101                              // 000000007680: 0ACACB0C
	v_mul_f32_e32 v102, v12, v102                              // 000000007684: 0ACCCD0C
	v_mul_f32_e32 v103, v12, v103                              // 000000007688: 0ACECF0C
	v_mul_f32_e32 v104, v12, v104                              // 00000000768C: 0AD0D10C
	v_mul_f32_e32 v105, v12, v105                              // 000000007690: 0AD2D30C
	v_mul_f32_e32 v106, v12, v106                              // 000000007694: 0AD4D50C
	v_mul_f32_e32 v107, v12, v107                              // 000000007698: 0AD6D70C
	v_mul_f32_e32 v108, v12, v108                              // 00000000769C: 0AD8D90C
	v_mul_f32_e32 v109, v12, v109                              // 0000000076A0: 0ADADB0C
	v_mul_f32_e32 v110, v12, v110                              // 0000000076A4: 0ADCDD0C
	v_mul_f32_e32 v111, v12, v111                              // 0000000076A8: 0ADEDF0C
	v_mul_f32_e32 v112, v12, v112                              // 0000000076AC: 0AE0E10C
	v_mul_f32_e32 v113, v12, v113                              // 0000000076B0: 0AE2E30C
	v_mul_f32_e32 v114, v12, v114                              // 0000000076B4: 0AE4E50C
	v_mul_f32_e32 v115, v12, v115                              // 0000000076B8: 0AE6E70C
	v_mul_f32_e32 v116, v12, v116                              // 0000000076BC: 0AE8E90C
	v_mul_f32_e32 v117, v12, v117                              // 0000000076C0: 0AEAEB0C
	v_mul_f32_e32 v118, v12, v118                              // 0000000076C4: 0AECED0C
	v_mul_f32_e32 v119, v12, v119                              // 0000000076C8: 0AEEEF0C
	v_mul_f32_e32 v120, v12, v120                              // 0000000076CC: 0AF0F10C
	v_mul_f32_e32 v121, v12, v121                              // 0000000076D0: 0AF2F30C
	v_mul_f32_e32 v122, v12, v122                              // 0000000076D4: 0AF4F50C
	v_mul_f32_e32 v123, v12, v123                              // 0000000076D8: 0AF6F70C
	v_mul_f32_e32 v124, v12, v124                              // 0000000076DC: 0AF8F90C
	v_mul_f32_e32 v125, v12, v125                              // 0000000076E0: 0AFAFB0C
	v_mul_f32_e32 v126, v12, v126                              // 0000000076E4: 0AFCFD0C
	v_mul_f32_e32 v127, v12, v127                              // 0000000076E8: 0AFEFF0C
	v_mul_f32_e32 v128, v12, v128                              // 0000000076EC: 0B01010C
	v_mul_f32_e32 v129, v12, v129                              // 0000000076F0: 0B03030C
	v_mul_f32_e32 v130, v12, v130                              // 0000000076F4: 0B05050C
	v_mul_f32_e32 v131, v12, v131                              // 0000000076F8: 0B07070C
	v_mul_f32_e32 v132, v12, v132                              // 0000000076FC: 0B09090C
	v_mul_f32_e32 v133, v12, v133                              // 000000007700: 0B0B0B0C
	v_mul_f32_e32 v134, v12, v134                              // 000000007704: 0B0D0D0C
	v_mul_f32_e32 v135, v12, v135                              // 000000007708: 0B0F0F0C
	v_mul_f32_e32 v136, v12, v136                              // 00000000770C: 0B11110C
	v_mul_f32_e32 v137, v12, v137                              // 000000007710: 0B13130C
	v_mul_f32_e32 v138, v12, v138                              // 000000007714: 0B15150C
	v_mul_f32_e32 v139, v12, v139                              // 000000007718: 0B17170C
	v_mul_f32_e32 v140, v12, v140                              // 00000000771C: 0B19190C
	v_mul_f32_e32 v141, v12, v141                              // 000000007720: 0B1B1B0C
	v_mul_f32_e32 v142, v12, v142                              // 000000007724: 0B1D1D0C
	v_mul_f32_e32 v143, v12, v143                              // 000000007728: 0B1F1F0C
	v_mul_f32_e32 v144, v12, v144                              // 00000000772C: 0B21210C
	v_mul_f32_e32 v145, v12, v145                              // 000000007730: 0B23230C
	v_mul_f32_e32 v146, v12, v146                              // 000000007734: 0B25250C
	v_mul_f32_e32 v147, v12, v147                              // 000000007738: 0B27270C
	v_mul_f32_e32 v148, v12, v148                              // 00000000773C: 0B29290C
	v_mul_f32_e32 v149, v12, v149                              // 000000007740: 0B2B2B0C
	v_mul_f32_e32 v150, v12, v150                              // 000000007744: 0B2D2D0C
	v_mul_f32_e32 v151, v12, v151                              // 000000007748: 0B2F2F0C
	v_mul_f32_e32 v152, v12, v152                              // 00000000774C: 0B31310C
	v_mul_f32_e32 v153, v12, v153                              // 000000007750: 0B33330C
	v_mul_f32_e32 v154, v12, v154                              // 000000007754: 0B35350C
	v_mul_f32_e32 v155, v12, v155                              // 000000007758: 0B37370C
	v_mul_f32_e32 v156, v12, v156                              // 00000000775C: 0B39390C
	v_mul_f32_e32 v157, v12, v157                              // 000000007760: 0B3B3B0C
	v_mul_f32_e32 v158, v12, v158                              // 000000007764: 0B3D3D0C
	v_mul_f32_e32 v159, v12, v159                              // 000000007768: 0B3F3F0C
	v_mul_f32_e32 v160, v12, v160                              // 00000000776C: 0B41410C
	v_mul_f32_e32 v161, v12, v161                              // 000000007770: 0B43430C
	v_mfma_f32_16x16x32_bf16 v[34:37], a[144:147], v[26:29], v[34:37]// 000000007774: D3B50022 0C8A3590
	v_mfma_f32_16x16x32_bf16 v[38:41], a[148:151], v[26:29], v[38:41]// 00000000777C: D3B50026 0C9A3594
	v_mfma_f32_16x16x32_bf16 v[42:45], a[152:155], v[26:29], v[42:45]// 000000007784: D3B5002A 0CAA3598
	v_mfma_f32_16x16x32_bf16 v[46:49], a[156:159], v[26:29], v[46:49]// 00000000778C: D3B5002E 0CBA359C
	v_mfma_f32_16x16x32_bf16 v[50:53], a[160:163], v[26:29], v[50:53]// 000000007794: D3B50032 0CCA35A0
	v_mfma_f32_16x16x32_bf16 v[54:57], a[164:167], v[26:29], v[54:57]// 00000000779C: D3B50036 0CDA35A4
	v_mfma_f32_16x16x32_bf16 v[58:61], a[168:171], v[26:29], v[58:61]// 0000000077A4: D3B5003A 0CEA35A8
	v_mfma_f32_16x16x32_bf16 v[62:65], a[172:175], v[26:29], v[62:65]// 0000000077AC: D3B5003E 0CFA35AC
	v_mfma_f32_16x16x32_bf16 v[66:69], a[176:179], v[26:29], v[66:69]// 0000000077B4: D3B50042 0D0A35B0
	v_mfma_f32_16x16x32_bf16 v[70:73], a[180:183], v[26:29], v[70:73]// 0000000077BC: D3B50046 0D1A35B4
	v_mfma_f32_16x16x32_bf16 v[74:77], a[184:187], v[26:29], v[74:77]// 0000000077C4: D3B5004A 0D2A35B8
	ds_read_b64_tr_b16 a[144:145], v6 offset:8192              // 0000000077CC: DBC62000 90000006
	ds_read_b64_tr_b16 a[146:147], v6 offset:8448              // 0000000077D4: DBC62100 92000006
	ds_read_b64_tr_b16 a[148:149], v7 offset:8192              // 0000000077DC: DBC62000 94000007
	ds_read_b64_tr_b16 a[150:151], v7 offset:8448              // 0000000077E4: DBC62100 96000007
	v_mfma_f32_16x16x32_bf16 v[78:81], a[188:191], v[26:29], v[78:81]// 0000000077EC: D3B5004E 0D3A35BC
	ds_read_b64_tr_b16 a[152:153], v6 offset:9216              // 0000000077F4: DBC62400 98000006
	ds_read_b64_tr_b16 a[154:155], v6 offset:9472              // 0000000077FC: DBC62500 9A000006
	ds_read_b64_tr_b16 a[156:157], v7 offset:9216              // 000000007804: DBC62400 9C000007
	ds_read_b64_tr_b16 a[158:159], v7 offset:9472              // 00000000780C: DBC62500 9E000007
	v_mfma_f32_16x16x32_bf16 v[82:85], a[192:195], v[26:29], v[82:85]// 000000007814: D3B50052 0D4A35C0
	ds_read_b64_tr_b16 a[160:161], v6 offset:10240             // 00000000781C: DBC62800 A0000006
	ds_read_b64_tr_b16 a[162:163], v6 offset:10496             // 000000007824: DBC62900 A2000006
	ds_read_b64_tr_b16 a[164:165], v7 offset:10240             // 00000000782C: DBC62800 A4000007
	ds_read_b64_tr_b16 a[166:167], v7 offset:10496             // 000000007834: DBC62900 A6000007
	v_mfma_f32_16x16x32_bf16 v[86:89], a[196:199], v[26:29], v[86:89]// 00000000783C: D3B50056 0D5A35C4
	ds_read_b64_tr_b16 a[168:169], v6 offset:11264             // 000000007844: DBC62C00 A8000006
	ds_read_b64_tr_b16 a[170:171], v6 offset:11520             // 00000000784C: DBC62D00 AA000006
	ds_read_b64_tr_b16 a[172:173], v7 offset:11264             // 000000007854: DBC62C00 AC000007
	ds_read_b64_tr_b16 a[174:175], v7 offset:11520             // 00000000785C: DBC62D00 AE000007
	v_mfma_f32_16x16x32_bf16 v[90:93], a[200:203], v[26:29], v[90:93]// 000000007864: D3B5005A 0D6A35C8
	ds_read_b64_tr_b16 a[176:177], v6 offset:12288             // 00000000786C: DBC63000 B0000006
	ds_read_b64_tr_b16 a[178:179], v6 offset:12544             // 000000007874: DBC63100 B2000006
	ds_read_b64_tr_b16 a[180:181], v7 offset:12288             // 00000000787C: DBC63000 B4000007
	ds_read_b64_tr_b16 a[182:183], v7 offset:12544             // 000000007884: DBC63100 B6000007
	v_mfma_f32_16x16x32_bf16 v[94:97], a[204:207], v[26:29], v[94:97]// 00000000788C: D3B5005E 0D7A35CC
	ds_read_b64_tr_b16 a[184:185], v6 offset:13312             // 000000007894: DBC63400 B8000006
	ds_read_b64_tr_b16 a[186:187], v6 offset:13568             // 00000000789C: DBC63500 BA000006
	ds_read_b64_tr_b16 a[188:189], v7 offset:13312             // 0000000078A4: DBC63400 BC000007
	ds_read_b64_tr_b16 a[190:191], v7 offset:13568             // 0000000078AC: DBC63500 BE000007
	ds_read_b64_tr_b16 a[192:193], v6 offset:14336             // 0000000078B4: DBC63800 C0000006
	ds_read_b64_tr_b16 a[194:195], v6 offset:14592             // 0000000078BC: DBC63900 C2000006
	ds_read_b64_tr_b16 a[196:197], v7 offset:14336             // 0000000078C4: DBC63800 C4000007
	ds_read_b64_tr_b16 a[198:199], v7 offset:14592             // 0000000078CC: DBC63900 C6000007
	ds_read_b64_tr_b16 a[200:201], v6 offset:15360             // 0000000078D4: DBC63C00 C8000006
	ds_read_b64_tr_b16 a[202:203], v6 offset:15616             // 0000000078DC: DBC63D00 CA000006
	ds_read_b64_tr_b16 a[204:205], v7 offset:15360             // 0000000078E4: DBC63C00 CC000007
	ds_read_b64_tr_b16 a[206:207], v7 offset:15616             // 0000000078EC: DBC63D00 CE000007
	s_waitcnt lgkmcnt(0)                                       // 0000000078F4: BF8CC07F
	v_mfma_f32_16x16x32_bf16 v[98:101], a[144:147], v[26:29], v[98:101]// 0000000078F8: D3B50062 0D8A3590
	v_mfma_f32_16x16x32_bf16 v[102:105], a[148:151], v[26:29], v[102:105]// 000000007900: D3B50066 0D9A3594
	v_mfma_f32_16x16x32_bf16 v[106:109], a[152:155], v[26:29], v[106:109]// 000000007908: D3B5006A 0DAA3598
	v_mfma_f32_16x16x32_bf16 v[110:113], a[156:159], v[26:29], v[110:113]// 000000007910: D3B5006E 0DBA359C
	v_mfma_f32_16x16x32_bf16 v[114:117], a[160:163], v[26:29], v[114:117]// 000000007918: D3B50072 0DCA35A0
	v_mfma_f32_16x16x32_bf16 v[118:121], a[164:167], v[26:29], v[118:121]// 000000007920: D3B50076 0DDA35A4
	v_mfma_f32_16x16x32_bf16 v[122:125], a[168:171], v[26:29], v[122:125]// 000000007928: D3B5007A 0DEA35A8
	v_mfma_f32_16x16x32_bf16 v[126:129], a[172:175], v[26:29], v[126:129]// 000000007930: D3B5007E 0DFA35AC
	v_mfma_f32_16x16x32_bf16 v[130:133], a[176:179], v[26:29], v[130:133]// 000000007938: D3B50082 0E0A35B0
	v_mfma_f32_16x16x32_bf16 v[134:137], a[180:183], v[26:29], v[134:137]// 000000007940: D3B50086 0E1A35B4
	v_mfma_f32_16x16x32_bf16 v[138:141], a[184:187], v[26:29], v[138:141]// 000000007948: D3B5008A 0E2A35B8
	v_mfma_f32_16x16x32_bf16 v[142:145], a[188:191], v[26:29], v[142:145]// 000000007950: D3B5008E 0E3A35BC
	v_mfma_f32_16x16x32_bf16 v[146:149], a[192:195], v[26:29], v[146:149]// 000000007958: D3B50092 0E4A35C0
	v_mfma_f32_16x16x32_bf16 v[150:153], a[196:199], v[26:29], v[150:153]// 000000007960: D3B50096 0E5A35C4
	v_mfma_f32_16x16x32_bf16 v[154:157], a[200:203], v[26:29], v[154:157]// 000000007968: D3B5009A 0E6A35C8
	v_mfma_f32_16x16x32_bf16 v[158:161], a[204:207], v[26:29], v[158:161]// 000000007970: D3B5009E 0E7A35CC
	s_nop 8                                                    // 000000007978: BF800008
	s_branch label_6B80                                        // 00000000797C: BF8204FE

0000000000007980 <label_5580>:
	s_waitcnt lgkmcnt(10)                                      // 000000007980: BF8CCA7F
	v_mfma_f32_16x16x32_bf16 v[26:29], a[72:75], a[0:3], 0     // 000000007984: D3B5001A 1A020148
	ds_read_b128 a[72:75], v15 offset:18432                    // 00000000798C: DBFE4800 4800000F
	v_mfma_f32_16x16x32_bf16 v[26:29], a[76:79], a[4:7], v[26:29]// 000000007994: D3B5001A 1C6A094C
	ds_read_b128 a[76:79], v15 offset:19456                    // 00000000799C: DBFE4C00 4C00000F
	v_mfma_f32_16x16x32_bf16 v[26:29], a[80:83], a[8:11], v[26:29]// 0000000079A4: D3B5001A 1C6A1150
	ds_read_b128 a[80:83], v15 offset:20480                    // 0000000079AC: DBFE5000 5000000F
	v_mfma_f32_16x16x32_bf16 v[26:29], a[84:87], a[12:15], v[26:29]// 0000000079B4: D3B5001A 1C6A1954
	ds_read_b128 a[84:87], v15 offset:21504                    // 0000000079BC: DBFE5400 5400000F
	v_mfma_f32_16x16x32_bf16 v[26:29], a[88:91], a[16:19], v[26:29]// 0000000079C4: D3B5001A 1C6A2158
	ds_read_b128 a[88:91], v15 offset:22528                    // 0000000079CC: DBFE5800 5800000F
	v_mfma_f32_16x16x32_bf16 v[26:29], a[92:95], a[20:23], v[26:29]// 0000000079D4: D3B5001A 1C6A295C
	ds_read_b128 a[92:95], v15 offset:23552                    // 0000000079DC: DBFE5C00 5C00000F
	v_mfma_f32_16x16x32_bf16 v[26:29], a[96:99], a[24:27], v[26:29]// 0000000079E4: D3B5001A 1C6A3160
	ds_read_b128 a[96:99], v15 offset:24576                    // 0000000079EC: DBFE6000 6000000F
	v_mfma_f32_16x16x32_bf16 v[26:29], a[100:103], a[28:31], v[26:29]// 0000000079F4: D3B5001A 1C6A3964
	ds_read_b128 a[100:103], v15 offset:25600                  // 0000000079FC: DBFE6400 6400000F
	v_mfma_f32_16x16x32_bf16 v[26:29], a[104:107], a[32:35], v[26:29]// 000000007A04: D3B5001A 1C6A4168
	ds_read_b128 a[104:107], v15 offset:26624                  // 000000007A0C: DBFE6800 6800000F
	v_mfma_f32_16x16x32_bf16 v[26:29], a[108:111], a[36:39], v[26:29]// 000000007A14: D3B5001A 1C6A496C
	ds_read_b128 a[108:111], v15 offset:27648                  // 000000007A1C: DBFE6C00 6C00000F
	v_mfma_f32_16x16x32_bf16 v[26:29], a[112:115], a[40:43], v[26:29]// 000000007A24: D3B5001A 1C6A5170
	ds_read_b128 a[112:115], v15 offset:28672                  // 000000007A2C: DBFE7000 7000000F
	v_mfma_f32_16x16x32_bf16 v[26:29], a[116:119], a[44:47], v[26:29]// 000000007A34: D3B5001A 1C6A5974
	ds_read_b128 a[116:119], v15 offset:29696                  // 000000007A3C: DBFE7400 7400000F
	v_mfma_f32_16x16x32_bf16 v[26:29], a[120:123], a[48:51], v[26:29]// 000000007A44: D3B5001A 1C6A6178
	ds_read_b128 a[120:123], v15 offset:30720                  // 000000007A4C: DBFE7800 7800000F
	v_mfma_f32_16x16x32_bf16 v[26:29], a[124:127], a[52:55], v[26:29]// 000000007A54: D3B5001A 1C6A697C
	ds_read_b128 a[124:127], v15 offset:31744                  // 000000007A5C: DBFE7C00 7C00000F
	v_mfma_f32_16x16x32_bf16 v[26:29], a[128:131], a[56:59], v[26:29]// 000000007A64: D3B5001A 1C6A7180
	ds_read_b128 a[128:131], v15 offset:32768                  // 000000007A6C: DBFE8000 8000000F
	v_mfma_f32_16x16x32_bf16 v[26:29], a[132:135], a[60:63], v[26:29]// 000000007A74: D3B5001A 1C6A7984
	ds_read_b128 a[132:135], v15 offset:33792                  // 000000007A7C: DBFE8400 8400000F
	v_mfma_f32_16x16x32_bf16 v[26:29], a[136:139], a[64:67], v[26:29]// 000000007A84: D3B5001A 1C6A8188
	ds_read_b128 a[136:139], v15 offset:34816                  // 000000007A8C: DBFE8800 8800000F
	v_mfma_f32_16x16x32_bf16 v[26:29], a[140:143], a[68:71], v[26:29]// 000000007A94: D3B5001A 1C6A898C
	ds_read_b128 a[140:143], v15 offset:35840                  // 000000007A9C: DBFE8C00 8C00000F
	s_waitcnt lgkmcnt(10)                                      // 000000007AA4: BF8CCA7F
	v_mfma_f32_16x16x32_bf16 v[30:33], a[72:75], a[0:3], 0     // 000000007AA8: D3B5001E 1A020148
	ds_read_b64_tr_b16 a[144:145], v8                          // 000000007AB0: DBC60000 90000008
	ds_read_b64_tr_b16 a[146:147], v8 offset:256               // 000000007AB8: DBC60100 92000008
	ds_read_b64_tr_b16 a[148:149], v9                          // 000000007AC0: DBC60000 94000009
	ds_read_b64_tr_b16 a[150:151], v9 offset:256               // 000000007AC8: DBC60100 96000009
	v_mfma_f32_16x16x32_bf16 v[30:33], a[76:79], a[4:7], v[30:33]// 000000007AD0: D3B5001E 1C7A094C
	ds_read_b64_tr_b16 a[152:153], v8 offset:1024              // 000000007AD8: DBC60400 98000008
	ds_read_b64_tr_b16 a[154:155], v8 offset:1280              // 000000007AE0: DBC60500 9A000008
	ds_read_b64_tr_b16 a[156:157], v9 offset:1024              // 000000007AE8: DBC60400 9C000009
	ds_read_b64_tr_b16 a[158:159], v9 offset:1280              // 000000007AF0: DBC60500 9E000009
	v_mfma_f32_16x16x32_bf16 v[30:33], a[80:83], a[8:11], v[30:33]// 000000007AF8: D3B5001E 1C7A1150
	ds_read_b64_tr_b16 a[160:161], v8 offset:2048              // 000000007B00: DBC60800 A0000008
	ds_read_b64_tr_b16 a[162:163], v8 offset:2304              // 000000007B08: DBC60900 A2000008
	ds_read_b64_tr_b16 a[164:165], v9 offset:2048              // 000000007B10: DBC60800 A4000009
	ds_read_b64_tr_b16 a[166:167], v9 offset:2304              // 000000007B18: DBC60900 A6000009
	v_mfma_f32_16x16x32_bf16 v[30:33], a[84:87], a[12:15], v[30:33]// 000000007B20: D3B5001E 1C7A1954
	ds_read_b64_tr_b16 a[168:169], v8 offset:3072              // 000000007B28: DBC60C00 A8000008
	ds_read_b64_tr_b16 a[170:171], v8 offset:3328              // 000000007B30: DBC60D00 AA000008
	ds_read_b64_tr_b16 a[172:173], v9 offset:3072              // 000000007B38: DBC60C00 AC000009
	ds_read_b64_tr_b16 a[174:175], v9 offset:3328              // 000000007B40: DBC60D00 AE000009
	v_mfma_f32_16x16x32_bf16 v[30:33], a[88:91], a[16:19], v[30:33]// 000000007B48: D3B5001E 1C7A2158
	ds_read_b64_tr_b16 a[176:177], v8 offset:4096              // 000000007B50: DBC61000 B0000008
	ds_read_b64_tr_b16 a[178:179], v8 offset:4352              // 000000007B58: DBC61100 B2000008
	ds_read_b64_tr_b16 a[180:181], v9 offset:4096              // 000000007B60: DBC61000 B4000009
	ds_read_b64_tr_b16 a[182:183], v9 offset:4352              // 000000007B68: DBC61100 B6000009
	v_mfma_f32_16x16x32_bf16 v[30:33], a[92:95], a[20:23], v[30:33]// 000000007B70: D3B5001E 1C7A295C
	ds_read_b64_tr_b16 a[184:185], v8 offset:5120              // 000000007B78: DBC61400 B8000008
	ds_read_b64_tr_b16 a[186:187], v8 offset:5376              // 000000007B80: DBC61500 BA000008
	ds_read_b64_tr_b16 a[188:189], v9 offset:5120              // 000000007B88: DBC61400 BC000009
	ds_read_b64_tr_b16 a[190:191], v9 offset:5376              // 000000007B90: DBC61500 BE000009
	v_mfma_f32_16x16x32_bf16 v[30:33], a[96:99], a[24:27], v[30:33]// 000000007B98: D3B5001E 1C7A3160
	ds_read_b64_tr_b16 a[192:193], v8 offset:6144              // 000000007BA0: DBC61800 C0000008
	ds_read_b64_tr_b16 a[194:195], v8 offset:6400              // 000000007BA8: DBC61900 C2000008
	ds_read_b64_tr_b16 a[196:197], v9 offset:6144              // 000000007BB0: DBC61800 C4000009
	ds_read_b64_tr_b16 a[198:199], v9 offset:6400              // 000000007BB8: DBC61900 C6000009
	v_mfma_f32_16x16x32_bf16 v[30:33], a[100:103], a[28:31], v[30:33]// 000000007BC0: D3B5001E 1C7A3964
	ds_read_b64_tr_b16 a[200:201], v8 offset:7168              // 000000007BC8: DBC61C00 C8000008
	ds_read_b64_tr_b16 a[202:203], v8 offset:7424              // 000000007BD0: DBC61D00 CA000008
	ds_read_b64_tr_b16 a[204:205], v9 offset:7168              // 000000007BD8: DBC61C00 CC000009
	ds_read_b64_tr_b16 a[206:207], v9 offset:7424              // 000000007BE0: DBC61D00 CE000009
	v_mfma_f32_16x16x32_bf16 v[30:33], a[104:107], a[32:35], v[30:33]// 000000007BE8: D3B5001E 1C7A4168
	v_mfma_f32_16x16x32_bf16 v[30:33], a[108:111], a[36:39], v[30:33]// 000000007BF0: D3B5001E 1C7A496C
	v_mfma_f32_16x16x32_bf16 v[30:33], a[112:115], a[40:43], v[30:33]// 000000007BF8: D3B5001E 1C7A5170
	v_mfma_f32_16x16x32_bf16 v[30:33], a[116:119], a[44:47], v[30:33]// 000000007C00: D3B5001E 1C7A5974
	v_mfma_f32_16x16x32_bf16 v[30:33], a[120:123], a[48:51], v[30:33]// 000000007C08: D3B5001E 1C7A6178
	v_mfma_f32_16x16x32_bf16 v[30:33], a[124:127], a[52:55], v[30:33]// 000000007C10: D3B5001E 1C7A697C
	v_mfma_f32_16x16x32_bf16 v[30:33], a[128:131], a[56:59], v[30:33]// 000000007C18: D3B5001E 1C7A7180
	v_mfma_f32_16x16x32_bf16 v[30:33], a[132:135], a[60:63], v[30:33]// 000000007C20: D3B5001E 1C7A7984
	v_mfma_f32_16x16x32_bf16 v[30:33], a[136:139], a[64:67], v[30:33]// 000000007C28: D3B5001E 1C7A8188
	v_mfma_f32_16x16x32_bf16 v[30:33], a[140:143], a[68:71], v[30:33]// 000000007C30: D3B5001E 1C7A898C
	s_nop 8                                                    // 000000007C38: BF800008
	s_and_b32 s56, s48, 0xff                                   // 000000007C3C: 8638FF30 000000FF
	v_mov_b32_e32 v23, s56                                     // 000000007C44: 7E2E0238
	v_lshrrev_b32_e32 v162, 4, v0                              // 000000007C48: 21440084
	v_mul_i32_i24_e32 v162, 4, v162                            // 000000007C4C: 0D454484
	v_add_u32_e32 v163, 1, v162                                // 000000007C50: 69474481
	v_add_u32_e32 v164, 2, v162                                // 000000007C54: 69494482
	v_add_u32_e32 v165, 3, v162                                // 000000007C58: 694B4483
	v_mov_b32_e32 v22, 0xff800000                              // 000000007C5C: 7E2C02FF FF800000
	v_cmp_lt_u32_e64 s[36:37], v162, v23                       // 000000007C64: D0C90024 00022FA2
	v_add_u32_e32 v162, 16, v162                               // 000000007C6C: 69454490
	s_nop 0                                                    // 000000007C70: BF800000
	v_cndmask_b32_e64 v26, v22, v26, s[36:37]                  // 000000007C74: D100001A 00923516
	v_cmp_lt_u32_e64 s[36:37], v163, v23                       // 000000007C7C: D0C90024 00022FA3
	v_add_u32_e32 v163, 16, v163                               // 000000007C84: 69474690
	s_nop 0                                                    // 000000007C88: BF800000
	v_cndmask_b32_e64 v27, v22, v27, s[36:37]                  // 000000007C8C: D100001B 00923716
	v_cmp_lt_u32_e64 s[36:37], v164, v23                       // 000000007C94: D0C90024 00022FA4
	v_add_u32_e32 v164, 16, v164                               // 000000007C9C: 69494890
	s_nop 0                                                    // 000000007CA0: BF800000
	v_cndmask_b32_e64 v28, v22, v28, s[36:37]                  // 000000007CA4: D100001C 00923916
	v_cmp_lt_u32_e64 s[36:37], v165, v23                       // 000000007CAC: D0C90024 00022FA5
	v_add_u32_e32 v165, 16, v165                               // 000000007CB4: 694B4A90
	s_nop 0                                                    // 000000007CB8: BF800000
	v_cndmask_b32_e64 v29, v22, v29, s[36:37]                  // 000000007CBC: D100001D 00923B16
	v_cmp_lt_u32_e64 s[36:37], v162, v23                       // 000000007CC4: D0C90024 00022FA2
	v_add_u32_e32 v162, 16, v162                               // 000000007CCC: 69454490
	s_nop 0                                                    // 000000007CD0: BF800000
	v_cndmask_b32_e64 v30, v22, v30, s[36:37]                  // 000000007CD4: D100001E 00923D16
	v_cmp_lt_u32_e64 s[36:37], v163, v23                       // 000000007CDC: D0C90024 00022FA3
	v_add_u32_e32 v163, 16, v163                               // 000000007CE4: 69474690
	s_nop 0                                                    // 000000007CE8: BF800000
	v_cndmask_b32_e64 v31, v22, v31, s[36:37]                  // 000000007CEC: D100001F 00923F16
	v_cmp_lt_u32_e64 s[36:37], v164, v23                       // 000000007CF4: D0C90024 00022FA4
	v_add_u32_e32 v164, 16, v164                               // 000000007CFC: 69494890
	s_nop 0                                                    // 000000007D00: BF800000
	v_cndmask_b32_e64 v32, v22, v32, s[36:37]                  // 000000007D04: D1000020 00924116
	v_cmp_lt_u32_e64 s[36:37], v165, v23                       // 000000007D0C: D0C90024 00022FA5
	v_add_u32_e32 v165, 16, v165                               // 000000007D14: 694B4A90
	s_nop 0                                                    // 000000007D18: BF800000
	v_cndmask_b32_e64 v33, v22, v33, s[36:37]                  // 000000007D1C: D1000021 00924316
	s_cmp_le_i32 s83, s82                                      // 000000007D24: BF055253
	s_cbranch_scc1 label_5A20                                  // 000000007D28: BF85003D
	v_mov_b32_e32 v22, s82                                     // 000000007D2C: 7E2C0252
	s_sub_u32 s58, s81, s80                                    // 000000007D30: 80BA5051
	s_add_u32 s58, s58, s7                                     // 000000007D34: 803A073A
	v_add_u32_e32 v22, s58, v22                                // 000000007D38: 682C2C3A
	s_sub_u32 s56, s83, 31                                     // 000000007D3C: 80B89F53
	v_lshrrev_b32_e32 v162, 4, v0                              // 000000007D40: 21440084
	v_mul_i32_i24_e32 v162, 4, v162                            // 000000007D44: 0D454484
	v_add_u32_e32 v162, s56, v162                              // 000000007D48: 69454438
	v_add_u32_e32 v163, 1, v162                                // 000000007D4C: 69474481
	v_add_u32_e32 v164, 2, v162                                // 000000007D50: 69494482
	v_add_u32_e32 v165, 3, v162                                // 000000007D54: 694B4483
	v_mov_b32_e32 v23, 0xff800000                              // 000000007D58: 7E2E02FF FF800000
	v_cmp_le_u32_e64 s[36:37], v162, v22                       // 000000007D60: D0CB0024 00022DA2
	v_add_u32_e32 v162, 16, v162                               // 000000007D68: 69454490
	s_nop 0                                                    // 000000007D6C: BF800000
	v_cndmask_b32_e64 v26, v23, v26, s[36:37]                  // 000000007D70: D100001A 00923517
	v_cmp_le_u32_e64 s[36:37], v163, v22                       // 000000007D78: D0CB0024 00022DA3
	v_add_u32_e32 v163, 16, v163                               // 000000007D80: 69474690
	s_nop 0                                                    // 000000007D84: BF800000
	v_cndmask_b32_e64 v27, v23, v27, s[36:37]                  // 000000007D88: D100001B 00923717
	v_cmp_le_u32_e64 s[36:37], v164, v22                       // 000000007D90: D0CB0024 00022DA4
	v_add_u32_e32 v164, 16, v164                               // 000000007D98: 69494890
	s_nop 0                                                    // 000000007D9C: BF800000
	v_cndmask_b32_e64 v28, v23, v28, s[36:37]                  // 000000007DA0: D100001C 00923917
	v_cmp_le_u32_e64 s[36:37], v165, v22                       // 000000007DA8: D0CB0024 00022DA5
	v_add_u32_e32 v165, 16, v165                               // 000000007DB0: 694B4A90
	s_nop 0                                                    // 000000007DB4: BF800000
	v_cndmask_b32_e64 v29, v23, v29, s[36:37]                  // 000000007DB8: D100001D 00923B17
	v_cmp_le_u32_e64 s[36:37], v162, v22                       // 000000007DC0: D0CB0024 00022DA2
	v_add_u32_e32 v162, 16, v162                               // 000000007DC8: 69454490
	s_nop 0                                                    // 000000007DCC: BF800000
	v_cndmask_b32_e64 v30, v23, v30, s[36:37]                  // 000000007DD0: D100001E 00923D17
	v_cmp_le_u32_e64 s[36:37], v163, v22                       // 000000007DD8: D0CB0024 00022DA3
	v_add_u32_e32 v163, 16, v163                               // 000000007DE0: 69474690
	s_nop 0                                                    // 000000007DE4: BF800000
	v_cndmask_b32_e64 v31, v23, v31, s[36:37]                  // 000000007DE8: D100001F 00923F17
	v_cmp_le_u32_e64 s[36:37], v164, v22                       // 000000007DF0: D0CB0024 00022DA4
	v_add_u32_e32 v164, 16, v164                               // 000000007DF8: 69494890
	s_nop 0                                                    // 000000007DFC: BF800000
	v_cndmask_b32_e64 v32, v23, v32, s[36:37]                  // 000000007E00: D1000020 00924117
	v_cmp_le_u32_e64 s[36:37], v165, v22                       // 000000007E08: D0CB0024 00022DA5
	v_add_u32_e32 v165, 16, v165                               // 000000007E10: 694B4A90
	s_nop 0                                                    // 000000007E14: BF800000
	v_cndmask_b32_e64 v33, v23, v33, s[36:37]                  // 000000007E18: D1000021 00924317

0000000000007e20 <label_5A20>:
	s_add_u32 s83, s84, s83                                    // 000000007E20: 80535354
	s_nop 2                                                    // 000000007E24: BF800002
	v_mov_b32_e32 v23, v26                                     // 000000007E28: 7E2E031A
	v_max3_f32 v23, v26, v27, v23                              // 000000007E2C: D1D30017 045E371A
	v_max3_f32 v23, v28, v29, v23                              // 000000007E34: D1D30017 045E3B1C
	v_max3_f32 v23, v30, v31, v23                              // 000000007E3C: D1D30017 045E3F1E
	v_max3_f32 v23, v32, v33, v23                              // 000000007E44: D1D30017 045E4320
	v_mov_b32_e32 v22, v23                                     // 000000007E4C: 7E2C0317
	v_mov_b32_e32 v23, v23                                     // 000000007E50: 7E2E0317
	s_nop 1                                                    // 000000007E54: BF800001
	v_permlane16_swap_b32_e32 v22, v23                         // 000000007E58: 7E2CB317
	v_mov_b32_e32 v25, v22                                     // 000000007E5C: 7E320316
	v_mov_b32_e32 v24, v23                                     // 000000007E60: 7E300317
	s_nop 1                                                    // 000000007E64: BF800001
	v_permlane32_swap_b32_e32 v22, v23                         // 000000007E68: 7E2CB517
	v_permlane32_swap_b32_e32 v24, v25                         // 000000007E6C: 7E30B519
	v_max3_f32 v23, v22, v23, v23                              // 000000007E70: D1D30017 045E2F16
	v_max3_f32 v23, v24, v25, v23                              // 000000007E78: D1D30017 045E3318
	v_mov_b32_e32 v22, 0xff800000                              // 000000007E80: 7E2C02FF FF800000
	v_cmp_eq_u32_e64 s[36:37], v22, v2                         // 000000007E88: D0CA0024 00020516
	v_max_f32_e32 v23, v23, v2                                 // 000000007E90: 162E0517
	v_sub_f32_e32 v12, v2, v23                                 // 000000007E94: 04182F02
	v_cndmask_b32_e64 v12, v12, 0, s[36:37]                    // 000000007E98: D100000C 0091010C
	v_mov_b32_e32 v2, v23                                      // 000000007EA0: 7E040317
	v_mul_f32_e32 v23, s5, v23                                 // 000000007EA4: 0A2E2E05
	v_mul_f32_e32 v12, s5, v12                                 // 000000007EA8: 0A181805
	v_exp_f32_e32 v12, v12                                     // 000000007EAC: 7E18410C
	v_fma_f32 v26, v26, s5, -v23                               // 000000007EB0: D1CB001A 845C0B1A
	v_fma_f32 v27, v27, s5, -v23                               // 000000007EB8: D1CB001B 845C0B1B
	v_fma_f32 v28, v28, s5, -v23                               // 000000007EC0: D1CB001C 845C0B1C
	v_fma_f32 v29, v29, s5, -v23                               // 000000007EC8: D1CB001D 845C0B1D
	v_fma_f32 v30, v30, s5, -v23                               // 000000007ED0: D1CB001E 845C0B1E
	v_fma_f32 v31, v31, s5, -v23                               // 000000007ED8: D1CB001F 845C0B1F
	v_fma_f32 v32, v32, s5, -v23                               // 000000007EE0: D1CB0020 845C0B20
	v_fma_f32 v33, v33, s5, -v23                               // 000000007EE8: D1CB0021 845C0B21
	v_exp_f32_e32 v26, v26                                     // 000000007EF0: 7E34411A
	v_exp_f32_e32 v27, v27                                     // 000000007EF4: 7E36411B
	v_exp_f32_e32 v28, v28                                     // 000000007EF8: 7E38411C
	v_exp_f32_e32 v29, v29                                     // 000000007EFC: 7E3A411D
	v_exp_f32_e32 v30, v30                                     // 000000007F00: 7E3C411E
	v_exp_f32_e32 v31, v31                                     // 000000007F04: 7E3E411F
	v_exp_f32_e32 v32, v32                                     // 000000007F08: 7E404120
	v_exp_f32_e32 v33, v33                                     // 000000007F0C: 7E424121
	v_mul_f32_e32 v4, v12, v4                                  // 000000007F10: 0A08090C
	v_mov_b32_e32 v22, v26                                     // 000000007F14: 7E2C031A
	v_add_f32_e32 v22, v27, v22                                // 000000007F18: 022C2D1B
	v_add_f32_e32 v22, v28, v22                                // 000000007F1C: 022C2D1C
	v_add_f32_e32 v22, v29, v22                                // 000000007F20: 022C2D1D
	v_add_f32_e32 v22, v30, v22                                // 000000007F24: 022C2D1E
	v_add_f32_e32 v22, v31, v22                                // 000000007F28: 022C2D1F
	v_add_f32_e32 v22, v32, v22                                // 000000007F2C: 022C2D20
	v_add_f32_e32 v22, v33, v22                                // 000000007F30: 022C2D21
	v_add_f32_e32 v4, v22, v4                                  // 000000007F34: 02080916
	v_cvt_pk_bf16_f32 v26, v26, v27                            // 000000007F38: D268001A 0002371A
	v_cvt_pk_bf16_f32 v27, v28, v29                            // 000000007F40: D268001B 00023B1C
	v_cvt_pk_bf16_f32 v28, v30, v31                            // 000000007F48: D268001C 00023F1E
	v_cvt_pk_bf16_f32 v29, v32, v33                            // 000000007F50: D268001D 00024320
	s_nop 0                                                    // 000000007F58: BF800000
	v_permlane32_swap_b32_e32 v26, v28                         // 000000007F5C: 7E34B51C
	v_permlane32_swap_b32_e32 v27, v29                         // 000000007F60: 7E36B51D
	s_nop 0                                                    // 000000007F64: BF800000
	v_permlane16_swap_b32_e32 v26, v28                         // 000000007F68: 7E34B31C
	v_permlane16_swap_b32_e32 v27, v29                         // 000000007F6C: 7E36B31D
	v_mul_f32_e32 v34, v12, v34                                // 000000007F70: 0A44450C
	v_mul_f32_e32 v35, v12, v35                                // 000000007F74: 0A46470C
	v_mul_f32_e32 v36, v12, v36                                // 000000007F78: 0A48490C
	v_mul_f32_e32 v37, v12, v37                                // 000000007F7C: 0A4A4B0C
	v_mul_f32_e32 v38, v12, v38                                // 000000007F80: 0A4C4D0C
	v_mul_f32_e32 v39, v12, v39                                // 000000007F84: 0A4E4F0C
	v_mul_f32_e32 v40, v12, v40                                // 000000007F88: 0A50510C
	v_mul_f32_e32 v41, v12, v41                                // 000000007F8C: 0A52530C
	v_mul_f32_e32 v42, v12, v42                                // 000000007F90: 0A54550C
	v_mul_f32_e32 v43, v12, v43                                // 000000007F94: 0A56570C
	v_mul_f32_e32 v44, v12, v44                                // 000000007F98: 0A58590C
	v_mul_f32_e32 v45, v12, v45                                // 000000007F9C: 0A5A5B0C
	v_mul_f32_e32 v46, v12, v46                                // 000000007FA0: 0A5C5D0C
	v_mul_f32_e32 v47, v12, v47                                // 000000007FA4: 0A5E5F0C
	v_mul_f32_e32 v48, v12, v48                                // 000000007FA8: 0A60610C
	v_mul_f32_e32 v49, v12, v49                                // 000000007FAC: 0A62630C
	v_mul_f32_e32 v50, v12, v50                                // 000000007FB0: 0A64650C
	v_mul_f32_e32 v51, v12, v51                                // 000000007FB4: 0A66670C
	v_mul_f32_e32 v52, v12, v52                                // 000000007FB8: 0A68690C
	v_mul_f32_e32 v53, v12, v53                                // 000000007FBC: 0A6A6B0C
	v_mul_f32_e32 v54, v12, v54                                // 000000007FC0: 0A6C6D0C
	v_mul_f32_e32 v55, v12, v55                                // 000000007FC4: 0A6E6F0C
	v_mul_f32_e32 v56, v12, v56                                // 000000007FC8: 0A70710C
	v_mul_f32_e32 v57, v12, v57                                // 000000007FCC: 0A72730C
	v_mul_f32_e32 v58, v12, v58                                // 000000007FD0: 0A74750C
	v_mul_f32_e32 v59, v12, v59                                // 000000007FD4: 0A76770C
	v_mul_f32_e32 v60, v12, v60                                // 000000007FD8: 0A78790C
	v_mul_f32_e32 v61, v12, v61                                // 000000007FDC: 0A7A7B0C
	v_mul_f32_e32 v62, v12, v62                                // 000000007FE0: 0A7C7D0C
	v_mul_f32_e32 v63, v12, v63                                // 000000007FE4: 0A7E7F0C
	v_mul_f32_e32 v64, v12, v64                                // 000000007FE8: 0A80810C
	v_mul_f32_e32 v65, v12, v65                                // 000000007FEC: 0A82830C
	v_mul_f32_e32 v66, v12, v66                                // 000000007FF0: 0A84850C
	v_mul_f32_e32 v67, v12, v67                                // 000000007FF4: 0A86870C
	v_mul_f32_e32 v68, v12, v68                                // 000000007FF8: 0A88890C
	v_mul_f32_e32 v69, v12, v69                                // 000000007FFC: 0A8A8B0C
	v_mul_f32_e32 v70, v12, v70                                // 000000008000: 0A8C8D0C
	v_mul_f32_e32 v71, v12, v71                                // 000000008004: 0A8E8F0C
	v_mul_f32_e32 v72, v12, v72                                // 000000008008: 0A90910C
	v_mul_f32_e32 v73, v12, v73                                // 00000000800C: 0A92930C
	v_mul_f32_e32 v74, v12, v74                                // 000000008010: 0A94950C
	v_mul_f32_e32 v75, v12, v75                                // 000000008014: 0A96970C
	v_mul_f32_e32 v76, v12, v76                                // 000000008018: 0A98990C
	v_mul_f32_e32 v77, v12, v77                                // 00000000801C: 0A9A9B0C
	v_mul_f32_e32 v78, v12, v78                                // 000000008020: 0A9C9D0C
	v_mul_f32_e32 v79, v12, v79                                // 000000008024: 0A9E9F0C
	v_mul_f32_e32 v80, v12, v80                                // 000000008028: 0AA0A10C
	v_mul_f32_e32 v81, v12, v81                                // 00000000802C: 0AA2A30C
	v_mul_f32_e32 v82, v12, v82                                // 000000008030: 0AA4A50C
	v_mul_f32_e32 v83, v12, v83                                // 000000008034: 0AA6A70C
	v_mul_f32_e32 v84, v12, v84                                // 000000008038: 0AA8A90C
	v_mul_f32_e32 v85, v12, v85                                // 00000000803C: 0AAAAB0C
	v_mul_f32_e32 v86, v12, v86                                // 000000008040: 0AACAD0C
	v_mul_f32_e32 v87, v12, v87                                // 000000008044: 0AAEAF0C
	v_mul_f32_e32 v88, v12, v88                                // 000000008048: 0AB0B10C
	v_mul_f32_e32 v89, v12, v89                                // 00000000804C: 0AB2B30C
	v_mul_f32_e32 v90, v12, v90                                // 000000008050: 0AB4B50C
	v_mul_f32_e32 v91, v12, v91                                // 000000008054: 0AB6B70C
	v_mul_f32_e32 v92, v12, v92                                // 000000008058: 0AB8B90C
	v_mul_f32_e32 v93, v12, v93                                // 00000000805C: 0ABABB0C
	v_mul_f32_e32 v94, v12, v94                                // 000000008060: 0ABCBD0C
	v_mul_f32_e32 v95, v12, v95                                // 000000008064: 0ABEBF0C
	v_mul_f32_e32 v96, v12, v96                                // 000000008068: 0AC0C10C
	v_mul_f32_e32 v97, v12, v97                                // 00000000806C: 0AC2C30C
	v_mul_f32_e32 v98, v12, v98                                // 000000008070: 0AC4C50C
	v_mul_f32_e32 v99, v12, v99                                // 000000008074: 0AC6C70C
	v_mul_f32_e32 v100, v12, v100                              // 000000008078: 0AC8C90C
	v_mul_f32_e32 v101, v12, v101                              // 00000000807C: 0ACACB0C
	v_mul_f32_e32 v102, v12, v102                              // 000000008080: 0ACCCD0C
	v_mul_f32_e32 v103, v12, v103                              // 000000008084: 0ACECF0C
	v_mul_f32_e32 v104, v12, v104                              // 000000008088: 0AD0D10C
	v_mul_f32_e32 v105, v12, v105                              // 00000000808C: 0AD2D30C
	v_mul_f32_e32 v106, v12, v106                              // 000000008090: 0AD4D50C
	v_mul_f32_e32 v107, v12, v107                              // 000000008094: 0AD6D70C
	v_mul_f32_e32 v108, v12, v108                              // 000000008098: 0AD8D90C
	v_mul_f32_e32 v109, v12, v109                              // 00000000809C: 0ADADB0C
	v_mul_f32_e32 v110, v12, v110                              // 0000000080A0: 0ADCDD0C
	v_mul_f32_e32 v111, v12, v111                              // 0000000080A4: 0ADEDF0C
	v_mul_f32_e32 v112, v12, v112                              // 0000000080A8: 0AE0E10C
	v_mul_f32_e32 v113, v12, v113                              // 0000000080AC: 0AE2E30C
	v_mul_f32_e32 v114, v12, v114                              // 0000000080B0: 0AE4E50C
	v_mul_f32_e32 v115, v12, v115                              // 0000000080B4: 0AE6E70C
	v_mul_f32_e32 v116, v12, v116                              // 0000000080B8: 0AE8E90C
	v_mul_f32_e32 v117, v12, v117                              // 0000000080BC: 0AEAEB0C
	v_mul_f32_e32 v118, v12, v118                              // 0000000080C0: 0AECED0C
	v_mul_f32_e32 v119, v12, v119                              // 0000000080C4: 0AEEEF0C
	v_mul_f32_e32 v120, v12, v120                              // 0000000080C8: 0AF0F10C
	v_mul_f32_e32 v121, v12, v121                              // 0000000080CC: 0AF2F30C
	v_mul_f32_e32 v122, v12, v122                              // 0000000080D0: 0AF4F50C
	v_mul_f32_e32 v123, v12, v123                              // 0000000080D4: 0AF6F70C
	v_mul_f32_e32 v124, v12, v124                              // 0000000080D8: 0AF8F90C
	v_mul_f32_e32 v125, v12, v125                              // 0000000080DC: 0AFAFB0C
	v_mul_f32_e32 v126, v12, v126                              // 0000000080E0: 0AFCFD0C
	v_mul_f32_e32 v127, v12, v127                              // 0000000080E4: 0AFEFF0C
	v_mul_f32_e32 v128, v12, v128                              // 0000000080E8: 0B01010C
	v_mul_f32_e32 v129, v12, v129                              // 0000000080EC: 0B03030C
	v_mul_f32_e32 v130, v12, v130                              // 0000000080F0: 0B05050C
	v_mul_f32_e32 v131, v12, v131                              // 0000000080F4: 0B07070C
	v_mul_f32_e32 v132, v12, v132                              // 0000000080F8: 0B09090C
	v_mul_f32_e32 v133, v12, v133                              // 0000000080FC: 0B0B0B0C
	v_mul_f32_e32 v134, v12, v134                              // 000000008100: 0B0D0D0C
	v_mul_f32_e32 v135, v12, v135                              // 000000008104: 0B0F0F0C
	v_mul_f32_e32 v136, v12, v136                              // 000000008108: 0B11110C
	v_mul_f32_e32 v137, v12, v137                              // 00000000810C: 0B13130C
	v_mul_f32_e32 v138, v12, v138                              // 000000008110: 0B15150C
	v_mul_f32_e32 v139, v12, v139                              // 000000008114: 0B17170C
	v_mul_f32_e32 v140, v12, v140                              // 000000008118: 0B19190C
	v_mul_f32_e32 v141, v12, v141                              // 00000000811C: 0B1B1B0C
	v_mul_f32_e32 v142, v12, v142                              // 000000008120: 0B1D1D0C
	v_mul_f32_e32 v143, v12, v143                              // 000000008124: 0B1F1F0C
	v_mul_f32_e32 v144, v12, v144                              // 000000008128: 0B21210C
	v_mul_f32_e32 v145, v12, v145                              // 00000000812C: 0B23230C
	v_mul_f32_e32 v146, v12, v146                              // 000000008130: 0B25250C
	v_mul_f32_e32 v147, v12, v147                              // 000000008134: 0B27270C
	v_mul_f32_e32 v148, v12, v148                              // 000000008138: 0B29290C
	v_mul_f32_e32 v149, v12, v149                              // 00000000813C: 0B2B2B0C
	v_mul_f32_e32 v150, v12, v150                              // 000000008140: 0B2D2D0C
	v_mul_f32_e32 v151, v12, v151                              // 000000008144: 0B2F2F0C
	v_mul_f32_e32 v152, v12, v152                              // 000000008148: 0B31310C
	v_mul_f32_e32 v153, v12, v153                              // 00000000814C: 0B33330C
	v_mul_f32_e32 v154, v12, v154                              // 000000008150: 0B35350C
	v_mul_f32_e32 v155, v12, v155                              // 000000008154: 0B37370C
	v_mul_f32_e32 v156, v12, v156                              // 000000008158: 0B39390C
	v_mul_f32_e32 v157, v12, v157                              // 00000000815C: 0B3B3B0C
	v_mul_f32_e32 v158, v12, v158                              // 000000008160: 0B3D3D0C
	v_mul_f32_e32 v159, v12, v159                              // 000000008164: 0B3F3F0C
	v_mul_f32_e32 v160, v12, v160                              // 000000008168: 0B41410C
	v_mul_f32_e32 v161, v12, v161                              // 00000000816C: 0B43430C
	v_mfma_f32_16x16x32_bf16 v[34:37], a[144:147], v[26:29], v[34:37]// 000000008170: D3B50022 0C8A3590
	v_mfma_f32_16x16x32_bf16 v[38:41], a[148:151], v[26:29], v[38:41]// 000000008178: D3B50026 0C9A3594
	v_mfma_f32_16x16x32_bf16 v[42:45], a[152:155], v[26:29], v[42:45]// 000000008180: D3B5002A 0CAA3598
	v_mfma_f32_16x16x32_bf16 v[46:49], a[156:159], v[26:29], v[46:49]// 000000008188: D3B5002E 0CBA359C
	v_mfma_f32_16x16x32_bf16 v[50:53], a[160:163], v[26:29], v[50:53]// 000000008190: D3B50032 0CCA35A0
	v_mfma_f32_16x16x32_bf16 v[54:57], a[164:167], v[26:29], v[54:57]// 000000008198: D3B50036 0CDA35A4
	v_mfma_f32_16x16x32_bf16 v[58:61], a[168:171], v[26:29], v[58:61]// 0000000081A0: D3B5003A 0CEA35A8
	v_mfma_f32_16x16x32_bf16 v[62:65], a[172:175], v[26:29], v[62:65]// 0000000081A8: D3B5003E 0CFA35AC
	v_mfma_f32_16x16x32_bf16 v[66:69], a[176:179], v[26:29], v[66:69]// 0000000081B0: D3B50042 0D0A35B0
	v_mfma_f32_16x16x32_bf16 v[70:73], a[180:183], v[26:29], v[70:73]// 0000000081B8: D3B50046 0D1A35B4
	v_mfma_f32_16x16x32_bf16 v[74:77], a[184:187], v[26:29], v[74:77]// 0000000081C0: D3B5004A 0D2A35B8
	ds_read_b64_tr_b16 a[144:145], v8 offset:8192              // 0000000081C8: DBC62000 90000008
	ds_read_b64_tr_b16 a[146:147], v8 offset:8448              // 0000000081D0: DBC62100 92000008
	ds_read_b64_tr_b16 a[148:149], v9 offset:8192              // 0000000081D8: DBC62000 94000009
	ds_read_b64_tr_b16 a[150:151], v9 offset:8448              // 0000000081E0: DBC62100 96000009
	v_mfma_f32_16x16x32_bf16 v[78:81], a[188:191], v[26:29], v[78:81]// 0000000081E8: D3B5004E 0D3A35BC
	ds_read_b64_tr_b16 a[152:153], v8 offset:9216              // 0000000081F0: DBC62400 98000008
	ds_read_b64_tr_b16 a[154:155], v8 offset:9472              // 0000000081F8: DBC62500 9A000008
	ds_read_b64_tr_b16 a[156:157], v9 offset:9216              // 000000008200: DBC62400 9C000009
	ds_read_b64_tr_b16 a[158:159], v9 offset:9472              // 000000008208: DBC62500 9E000009
	v_mfma_f32_16x16x32_bf16 v[82:85], a[192:195], v[26:29], v[82:85]// 000000008210: D3B50052 0D4A35C0
	ds_read_b64_tr_b16 a[160:161], v8 offset:10240             // 000000008218: DBC62800 A0000008
	ds_read_b64_tr_b16 a[162:163], v8 offset:10496             // 000000008220: DBC62900 A2000008
	ds_read_b64_tr_b16 a[164:165], v9 offset:10240             // 000000008228: DBC62800 A4000009
	ds_read_b64_tr_b16 a[166:167], v9 offset:10496             // 000000008230: DBC62900 A6000009
	v_mfma_f32_16x16x32_bf16 v[86:89], a[196:199], v[26:29], v[86:89]// 000000008238: D3B50056 0D5A35C4
	ds_read_b64_tr_b16 a[168:169], v8 offset:11264             // 000000008240: DBC62C00 A8000008
	ds_read_b64_tr_b16 a[170:171], v8 offset:11520             // 000000008248: DBC62D00 AA000008
	ds_read_b64_tr_b16 a[172:173], v9 offset:11264             // 000000008250: DBC62C00 AC000009
	ds_read_b64_tr_b16 a[174:175], v9 offset:11520             // 000000008258: DBC62D00 AE000009
	v_mfma_f32_16x16x32_bf16 v[90:93], a[200:203], v[26:29], v[90:93]// 000000008260: D3B5005A 0D6A35C8
	ds_read_b64_tr_b16 a[176:177], v8 offset:12288             // 000000008268: DBC63000 B0000008
	ds_read_b64_tr_b16 a[178:179], v8 offset:12544             // 000000008270: DBC63100 B2000008
	ds_read_b64_tr_b16 a[180:181], v9 offset:12288             // 000000008278: DBC63000 B4000009
	ds_read_b64_tr_b16 a[182:183], v9 offset:12544             // 000000008280: DBC63100 B6000009
	v_mfma_f32_16x16x32_bf16 v[94:97], a[204:207], v[26:29], v[94:97]// 000000008288: D3B5005E 0D7A35CC
	ds_read_b64_tr_b16 a[184:185], v8 offset:13312             // 000000008290: DBC63400 B8000008
	ds_read_b64_tr_b16 a[186:187], v8 offset:13568             // 000000008298: DBC63500 BA000008
	ds_read_b64_tr_b16 a[188:189], v9 offset:13312             // 0000000082A0: DBC63400 BC000009
	ds_read_b64_tr_b16 a[190:191], v9 offset:13568             // 0000000082A8: DBC63500 BE000009
	ds_read_b64_tr_b16 a[192:193], v8 offset:14336             // 0000000082B0: DBC63800 C0000008
	ds_read_b64_tr_b16 a[194:195], v8 offset:14592             // 0000000082B8: DBC63900 C2000008
	ds_read_b64_tr_b16 a[196:197], v9 offset:14336             // 0000000082C0: DBC63800 C4000009
	ds_read_b64_tr_b16 a[198:199], v9 offset:14592             // 0000000082C8: DBC63900 C6000009
	ds_read_b64_tr_b16 a[200:201], v8 offset:15360             // 0000000082D0: DBC63C00 C8000008
	ds_read_b64_tr_b16 a[202:203], v8 offset:15616             // 0000000082D8: DBC63D00 CA000008
	ds_read_b64_tr_b16 a[204:205], v9 offset:15360             // 0000000082E0: DBC63C00 CC000009
	ds_read_b64_tr_b16 a[206:207], v9 offset:15616             // 0000000082E8: DBC63D00 CE000009
	s_waitcnt lgkmcnt(0)                                       // 0000000082F0: BF8CC07F
	v_mfma_f32_16x16x32_bf16 v[98:101], a[144:147], v[26:29], v[98:101]// 0000000082F4: D3B50062 0D8A3590
	v_mfma_f32_16x16x32_bf16 v[102:105], a[148:151], v[26:29], v[102:105]// 0000000082FC: D3B50066 0D9A3594
	v_mfma_f32_16x16x32_bf16 v[106:109], a[152:155], v[26:29], v[106:109]// 000000008304: D3B5006A 0DAA3598
	v_mfma_f32_16x16x32_bf16 v[110:113], a[156:159], v[26:29], v[110:113]// 00000000830C: D3B5006E 0DBA359C
	v_mfma_f32_16x16x32_bf16 v[114:117], a[160:163], v[26:29], v[114:117]// 000000008314: D3B50072 0DCA35A0
	v_mfma_f32_16x16x32_bf16 v[118:121], a[164:167], v[26:29], v[118:121]// 00000000831C: D3B50076 0DDA35A4
	v_mfma_f32_16x16x32_bf16 v[122:125], a[168:171], v[26:29], v[122:125]// 000000008324: D3B5007A 0DEA35A8
	v_mfma_f32_16x16x32_bf16 v[126:129], a[172:175], v[26:29], v[126:129]// 00000000832C: D3B5007E 0DFA35AC
	v_mfma_f32_16x16x32_bf16 v[130:133], a[176:179], v[26:29], v[130:133]// 000000008334: D3B50082 0E0A35B0
	v_mfma_f32_16x16x32_bf16 v[134:137], a[180:183], v[26:29], v[134:137]// 00000000833C: D3B50086 0E1A35B4
	v_mfma_f32_16x16x32_bf16 v[138:141], a[184:187], v[26:29], v[138:141]// 000000008344: D3B5008A 0E2A35B8
	v_mfma_f32_16x16x32_bf16 v[142:145], a[188:191], v[26:29], v[142:145]// 00000000834C: D3B5008E 0E3A35BC
	v_mfma_f32_16x16x32_bf16 v[146:149], a[192:195], v[26:29], v[146:149]// 000000008354: D3B50092 0E4A35C0
	v_mfma_f32_16x16x32_bf16 v[150:153], a[196:199], v[26:29], v[150:153]// 00000000835C: D3B50096 0E5A35C4
	v_mfma_f32_16x16x32_bf16 v[154:157], a[200:203], v[26:29], v[154:157]// 000000008364: D3B5009A 0E6A35C8
	v_mfma_f32_16x16x32_bf16 v[158:161], a[204:207], v[26:29], v[158:161]// 00000000836C: D3B5009E 0E7A35CC
	s_nop 8                                                    // 000000008374: BF800008
	s_branch label_6B80                                        // 000000008378: BF82027F

000000000000837c <label_5F7C>:
	s_waitcnt lgkmcnt(10)                                      // 00000000837C: BF8CCA7F
	v_mfma_f32_16x16x32_bf16 v[26:29], a[72:75], a[0:3], 0     // 000000008380: D3B5001A 1A020148
	ds_read_b128 a[72:75], v16 offset:18432                    // 000000008388: DBFE4800 48000010
	v_mfma_f32_16x16x32_bf16 v[26:29], a[76:79], a[4:7], v[26:29]// 000000008390: D3B5001A 1C6A094C
	ds_read_b128 a[76:79], v16 offset:19456                    // 000000008398: DBFE4C00 4C000010
	v_mfma_f32_16x16x32_bf16 v[26:29], a[80:83], a[8:11], v[26:29]// 0000000083A0: D3B5001A 1C6A1150
	ds_read_b128 a[80:83], v16 offset:20480                    // 0000000083A8: DBFE5000 50000010
	v_mfma_f32_16x16x32_bf16 v[26:29], a[84:87], a[12:15], v[26:29]// 0000000083B0: D3B5001A 1C6A1954
	ds_read_b128 a[84:87], v16 offset:21504                    // 0000000083B8: DBFE5400 54000010
	v_mfma_f32_16x16x32_bf16 v[26:29], a[88:91], a[16:19], v[26:29]// 0000000083C0: D3B5001A 1C6A2158
	ds_read_b128 a[88:91], v16 offset:22528                    // 0000000083C8: DBFE5800 58000010
	v_mfma_f32_16x16x32_bf16 v[26:29], a[92:95], a[20:23], v[26:29]// 0000000083D0: D3B5001A 1C6A295C
	ds_read_b128 a[92:95], v16 offset:23552                    // 0000000083D8: DBFE5C00 5C000010
	v_mfma_f32_16x16x32_bf16 v[26:29], a[96:99], a[24:27], v[26:29]// 0000000083E0: D3B5001A 1C6A3160
	ds_read_b128 a[96:99], v16 offset:24576                    // 0000000083E8: DBFE6000 60000010
	v_mfma_f32_16x16x32_bf16 v[26:29], a[100:103], a[28:31], v[26:29]// 0000000083F0: D3B5001A 1C6A3964
	ds_read_b128 a[100:103], v16 offset:25600                  // 0000000083F8: DBFE6400 64000010
	v_mfma_f32_16x16x32_bf16 v[26:29], a[104:107], a[32:35], v[26:29]// 000000008400: D3B5001A 1C6A4168
	ds_read_b128 a[104:107], v16 offset:26624                  // 000000008408: DBFE6800 68000010
	v_mfma_f32_16x16x32_bf16 v[26:29], a[108:111], a[36:39], v[26:29]// 000000008410: D3B5001A 1C6A496C
	ds_read_b128 a[108:111], v16 offset:27648                  // 000000008418: DBFE6C00 6C000010
	v_mfma_f32_16x16x32_bf16 v[26:29], a[112:115], a[40:43], v[26:29]// 000000008420: D3B5001A 1C6A5170
	ds_read_b128 a[112:115], v16 offset:28672                  // 000000008428: DBFE7000 70000010
	v_mfma_f32_16x16x32_bf16 v[26:29], a[116:119], a[44:47], v[26:29]// 000000008430: D3B5001A 1C6A5974
	ds_read_b128 a[116:119], v16 offset:29696                  // 000000008438: DBFE7400 74000010
	v_mfma_f32_16x16x32_bf16 v[26:29], a[120:123], a[48:51], v[26:29]// 000000008440: D3B5001A 1C6A6178
	ds_read_b128 a[120:123], v16 offset:30720                  // 000000008448: DBFE7800 78000010
	v_mfma_f32_16x16x32_bf16 v[26:29], a[124:127], a[52:55], v[26:29]// 000000008450: D3B5001A 1C6A697C
	ds_read_b128 a[124:127], v16 offset:31744                  // 000000008458: DBFE7C00 7C000010
	v_mfma_f32_16x16x32_bf16 v[26:29], a[128:131], a[56:59], v[26:29]// 000000008460: D3B5001A 1C6A7180
	ds_read_b128 a[128:131], v16 offset:32768                  // 000000008468: DBFE8000 80000010
	v_mfma_f32_16x16x32_bf16 v[26:29], a[132:135], a[60:63], v[26:29]// 000000008470: D3B5001A 1C6A7984
	ds_read_b128 a[132:135], v16 offset:33792                  // 000000008478: DBFE8400 84000010
	v_mfma_f32_16x16x32_bf16 v[26:29], a[136:139], a[64:67], v[26:29]// 000000008480: D3B5001A 1C6A8188
	ds_read_b128 a[136:139], v16 offset:34816                  // 000000008488: DBFE8800 88000010
	v_mfma_f32_16x16x32_bf16 v[26:29], a[140:143], a[68:71], v[26:29]// 000000008490: D3B5001A 1C6A898C
	ds_read_b128 a[140:143], v16 offset:35840                  // 000000008498: DBFE8C00 8C000010
	s_waitcnt lgkmcnt(10)                                      // 0000000084A0: BF8CCA7F
	v_mfma_f32_16x16x32_bf16 v[30:33], a[72:75], a[0:3], 0     // 0000000084A4: D3B5001E 1A020148
	ds_read_b64_tr_b16 a[144:145], v10                         // 0000000084AC: DBC60000 9000000A
	ds_read_b64_tr_b16 a[146:147], v10 offset:256              // 0000000084B4: DBC60100 9200000A
	ds_read_b64_tr_b16 a[148:149], v11                         // 0000000084BC: DBC60000 9400000B
	ds_read_b64_tr_b16 a[150:151], v11 offset:256              // 0000000084C4: DBC60100 9600000B
	v_mfma_f32_16x16x32_bf16 v[30:33], a[76:79], a[4:7], v[30:33]// 0000000084CC: D3B5001E 1C7A094C
	ds_read_b64_tr_b16 a[152:153], v10 offset:1024             // 0000000084D4: DBC60400 9800000A
	ds_read_b64_tr_b16 a[154:155], v10 offset:1280             // 0000000084DC: DBC60500 9A00000A
	ds_read_b64_tr_b16 a[156:157], v11 offset:1024             // 0000000084E4: DBC60400 9C00000B
	ds_read_b64_tr_b16 a[158:159], v11 offset:1280             // 0000000084EC: DBC60500 9E00000B
	v_mfma_f32_16x16x32_bf16 v[30:33], a[80:83], a[8:11], v[30:33]// 0000000084F4: D3B5001E 1C7A1150
	ds_read_b64_tr_b16 a[160:161], v10 offset:2048             // 0000000084FC: DBC60800 A000000A
	ds_read_b64_tr_b16 a[162:163], v10 offset:2304             // 000000008504: DBC60900 A200000A
	ds_read_b64_tr_b16 a[164:165], v11 offset:2048             // 00000000850C: DBC60800 A400000B
	ds_read_b64_tr_b16 a[166:167], v11 offset:2304             // 000000008514: DBC60900 A600000B
	v_mfma_f32_16x16x32_bf16 v[30:33], a[84:87], a[12:15], v[30:33]// 00000000851C: D3B5001E 1C7A1954
	ds_read_b64_tr_b16 a[168:169], v10 offset:3072             // 000000008524: DBC60C00 A800000A
	ds_read_b64_tr_b16 a[170:171], v10 offset:3328             // 00000000852C: DBC60D00 AA00000A
	ds_read_b64_tr_b16 a[172:173], v11 offset:3072             // 000000008534: DBC60C00 AC00000B
	ds_read_b64_tr_b16 a[174:175], v11 offset:3328             // 00000000853C: DBC60D00 AE00000B
	v_mfma_f32_16x16x32_bf16 v[30:33], a[88:91], a[16:19], v[30:33]// 000000008544: D3B5001E 1C7A2158
	ds_read_b64_tr_b16 a[176:177], v10 offset:4096             // 00000000854C: DBC61000 B000000A
	ds_read_b64_tr_b16 a[178:179], v10 offset:4352             // 000000008554: DBC61100 B200000A
	ds_read_b64_tr_b16 a[180:181], v11 offset:4096             // 00000000855C: DBC61000 B400000B
	ds_read_b64_tr_b16 a[182:183], v11 offset:4352             // 000000008564: DBC61100 B600000B
	v_mfma_f32_16x16x32_bf16 v[30:33], a[92:95], a[20:23], v[30:33]// 00000000856C: D3B5001E 1C7A295C
	ds_read_b64_tr_b16 a[184:185], v10 offset:5120             // 000000008574: DBC61400 B800000A
	ds_read_b64_tr_b16 a[186:187], v10 offset:5376             // 00000000857C: DBC61500 BA00000A
	ds_read_b64_tr_b16 a[188:189], v11 offset:5120             // 000000008584: DBC61400 BC00000B
	ds_read_b64_tr_b16 a[190:191], v11 offset:5376             // 00000000858C: DBC61500 BE00000B
	v_mfma_f32_16x16x32_bf16 v[30:33], a[96:99], a[24:27], v[30:33]// 000000008594: D3B5001E 1C7A3160
	ds_read_b64_tr_b16 a[192:193], v10 offset:6144             // 00000000859C: DBC61800 C000000A
	ds_read_b64_tr_b16 a[194:195], v10 offset:6400             // 0000000085A4: DBC61900 C200000A
	ds_read_b64_tr_b16 a[196:197], v11 offset:6144             // 0000000085AC: DBC61800 C400000B
	ds_read_b64_tr_b16 a[198:199], v11 offset:6400             // 0000000085B4: DBC61900 C600000B
	v_mfma_f32_16x16x32_bf16 v[30:33], a[100:103], a[28:31], v[30:33]// 0000000085BC: D3B5001E 1C7A3964
	ds_read_b64_tr_b16 a[200:201], v10 offset:7168             // 0000000085C4: DBC61C00 C800000A
	ds_read_b64_tr_b16 a[202:203], v10 offset:7424             // 0000000085CC: DBC61D00 CA00000A
	ds_read_b64_tr_b16 a[204:205], v11 offset:7168             // 0000000085D4: DBC61C00 CC00000B
	ds_read_b64_tr_b16 a[206:207], v11 offset:7424             // 0000000085DC: DBC61D00 CE00000B
	v_mfma_f32_16x16x32_bf16 v[30:33], a[104:107], a[32:35], v[30:33]// 0000000085E4: D3B5001E 1C7A4168
	v_mfma_f32_16x16x32_bf16 v[30:33], a[108:111], a[36:39], v[30:33]// 0000000085EC: D3B5001E 1C7A496C
	v_mfma_f32_16x16x32_bf16 v[30:33], a[112:115], a[40:43], v[30:33]// 0000000085F4: D3B5001E 1C7A5170
	v_mfma_f32_16x16x32_bf16 v[30:33], a[116:119], a[44:47], v[30:33]// 0000000085FC: D3B5001E 1C7A5974
	v_mfma_f32_16x16x32_bf16 v[30:33], a[120:123], a[48:51], v[30:33]// 000000008604: D3B5001E 1C7A6178
	v_mfma_f32_16x16x32_bf16 v[30:33], a[124:127], a[52:55], v[30:33]// 00000000860C: D3B5001E 1C7A697C
	v_mfma_f32_16x16x32_bf16 v[30:33], a[128:131], a[56:59], v[30:33]// 000000008614: D3B5001E 1C7A7180
	v_mfma_f32_16x16x32_bf16 v[30:33], a[132:135], a[60:63], v[30:33]// 00000000861C: D3B5001E 1C7A7984
	v_mfma_f32_16x16x32_bf16 v[30:33], a[136:139], a[64:67], v[30:33]// 000000008624: D3B5001E 1C7A8188
	v_mfma_f32_16x16x32_bf16 v[30:33], a[140:143], a[68:71], v[30:33]// 00000000862C: D3B5001E 1C7A898C
	s_nop 8                                                    // 000000008634: BF800008
	s_and_b32 s56, s48, 0xff                                   // 000000008638: 8638FF30 000000FF
	v_mov_b32_e32 v23, s56                                     // 000000008640: 7E2E0238
	v_lshrrev_b32_e32 v162, 4, v0                              // 000000008644: 21440084
	v_mul_i32_i24_e32 v162, 4, v162                            // 000000008648: 0D454484
	v_add_u32_e32 v163, 1, v162                                // 00000000864C: 69474481
	v_add_u32_e32 v164, 2, v162                                // 000000008650: 69494482
	v_add_u32_e32 v165, 3, v162                                // 000000008654: 694B4483
	v_mov_b32_e32 v22, 0xff800000                              // 000000008658: 7E2C02FF FF800000
	v_cmp_lt_u32_e64 s[36:37], v162, v23                       // 000000008660: D0C90024 00022FA2
	v_add_u32_e32 v162, 16, v162                               // 000000008668: 69454490
	s_nop 0                                                    // 00000000866C: BF800000
	v_cndmask_b32_e64 v26, v22, v26, s[36:37]                  // 000000008670: D100001A 00923516
	v_cmp_lt_u32_e64 s[36:37], v163, v23                       // 000000008678: D0C90024 00022FA3
	v_add_u32_e32 v163, 16, v163                               // 000000008680: 69474690
	s_nop 0                                                    // 000000008684: BF800000
	v_cndmask_b32_e64 v27, v22, v27, s[36:37]                  // 000000008688: D100001B 00923716
	v_cmp_lt_u32_e64 s[36:37], v164, v23                       // 000000008690: D0C90024 00022FA4
	v_add_u32_e32 v164, 16, v164                               // 000000008698: 69494890
	s_nop 0                                                    // 00000000869C: BF800000
	v_cndmask_b32_e64 v28, v22, v28, s[36:37]                  // 0000000086A0: D100001C 00923916
	v_cmp_lt_u32_e64 s[36:37], v165, v23                       // 0000000086A8: D0C90024 00022FA5
	v_add_u32_e32 v165, 16, v165                               // 0000000086B0: 694B4A90
	s_nop 0                                                    // 0000000086B4: BF800000
	v_cndmask_b32_e64 v29, v22, v29, s[36:37]                  // 0000000086B8: D100001D 00923B16
	v_cmp_lt_u32_e64 s[36:37], v162, v23                       // 0000000086C0: D0C90024 00022FA2
	v_add_u32_e32 v162, 16, v162                               // 0000000086C8: 69454490
	s_nop 0                                                    // 0000000086CC: BF800000
	v_cndmask_b32_e64 v30, v22, v30, s[36:37]                  // 0000000086D0: D100001E 00923D16
	v_cmp_lt_u32_e64 s[36:37], v163, v23                       // 0000000086D8: D0C90024 00022FA3
	v_add_u32_e32 v163, 16, v163                               // 0000000086E0: 69474690
	s_nop 0                                                    // 0000000086E4: BF800000
	v_cndmask_b32_e64 v31, v22, v31, s[36:37]                  // 0000000086E8: D100001F 00923F16
	v_cmp_lt_u32_e64 s[36:37], v164, v23                       // 0000000086F0: D0C90024 00022FA4
	v_add_u32_e32 v164, 16, v164                               // 0000000086F8: 69494890
	s_nop 0                                                    // 0000000086FC: BF800000
	v_cndmask_b32_e64 v32, v22, v32, s[36:37]                  // 000000008700: D1000020 00924116
	v_cmp_lt_u32_e64 s[36:37], v165, v23                       // 000000008708: D0C90024 00022FA5
	v_add_u32_e32 v165, 16, v165                               // 000000008710: 694B4A90
	s_nop 0                                                    // 000000008714: BF800000
	v_cndmask_b32_e64 v33, v22, v33, s[36:37]                  // 000000008718: D1000021 00924316
	s_cmp_le_i32 s83, s82                                      // 000000008720: BF055253
	s_cbranch_scc1 label_641C                                  // 000000008724: BF85003D
	v_mov_b32_e32 v22, s82                                     // 000000008728: 7E2C0252
	s_sub_u32 s58, s81, s80                                    // 00000000872C: 80BA5051
	s_add_u32 s58, s58, s7                                     // 000000008730: 803A073A
	v_add_u32_e32 v22, s58, v22                                // 000000008734: 682C2C3A
	s_sub_u32 s56, s83, 31                                     // 000000008738: 80B89F53
	v_lshrrev_b32_e32 v162, 4, v0                              // 00000000873C: 21440084
	v_mul_i32_i24_e32 v162, 4, v162                            // 000000008740: 0D454484
	v_add_u32_e32 v162, s56, v162                              // 000000008744: 69454438
	v_add_u32_e32 v163, 1, v162                                // 000000008748: 69474481
	v_add_u32_e32 v164, 2, v162                                // 00000000874C: 69494482
	v_add_u32_e32 v165, 3, v162                                // 000000008750: 694B4483
	v_mov_b32_e32 v23, 0xff800000                              // 000000008754: 7E2E02FF FF800000
	v_cmp_le_u32_e64 s[36:37], v162, v22                       // 00000000875C: D0CB0024 00022DA2
	v_add_u32_e32 v162, 16, v162                               // 000000008764: 69454490
	s_nop 0                                                    // 000000008768: BF800000
	v_cndmask_b32_e64 v26, v23, v26, s[36:37]                  // 00000000876C: D100001A 00923517
	v_cmp_le_u32_e64 s[36:37], v163, v22                       // 000000008774: D0CB0024 00022DA3
	v_add_u32_e32 v163, 16, v163                               // 00000000877C: 69474690
	s_nop 0                                                    // 000000008780: BF800000
	v_cndmask_b32_e64 v27, v23, v27, s[36:37]                  // 000000008784: D100001B 00923717
	v_cmp_le_u32_e64 s[36:37], v164, v22                       // 00000000878C: D0CB0024 00022DA4
	v_add_u32_e32 v164, 16, v164                               // 000000008794: 69494890
	s_nop 0                                                    // 000000008798: BF800000
	v_cndmask_b32_e64 v28, v23, v28, s[36:37]                  // 00000000879C: D100001C 00923917
	v_cmp_le_u32_e64 s[36:37], v165, v22                       // 0000000087A4: D0CB0024 00022DA5
	v_add_u32_e32 v165, 16, v165                               // 0000000087AC: 694B4A90
	s_nop 0                                                    // 0000000087B0: BF800000
	v_cndmask_b32_e64 v29, v23, v29, s[36:37]                  // 0000000087B4: D100001D 00923B17
	v_cmp_le_u32_e64 s[36:37], v162, v22                       // 0000000087BC: D0CB0024 00022DA2
	v_add_u32_e32 v162, 16, v162                               // 0000000087C4: 69454490
	s_nop 0                                                    // 0000000087C8: BF800000
	v_cndmask_b32_e64 v30, v23, v30, s[36:37]                  // 0000000087CC: D100001E 00923D17
	v_cmp_le_u32_e64 s[36:37], v163, v22                       // 0000000087D4: D0CB0024 00022DA3
	v_add_u32_e32 v163, 16, v163                               // 0000000087DC: 69474690
	s_nop 0                                                    // 0000000087E0: BF800000
	v_cndmask_b32_e64 v31, v23, v31, s[36:37]                  // 0000000087E4: D100001F 00923F17
	v_cmp_le_u32_e64 s[36:37], v164, v22                       // 0000000087EC: D0CB0024 00022DA4
	v_add_u32_e32 v164, 16, v164                               // 0000000087F4: 69494890
	s_nop 0                                                    // 0000000087F8: BF800000
	v_cndmask_b32_e64 v32, v23, v32, s[36:37]                  // 0000000087FC: D1000020 00924117
	v_cmp_le_u32_e64 s[36:37], v165, v22                       // 000000008804: D0CB0024 00022DA5
	v_add_u32_e32 v165, 16, v165                               // 00000000880C: 694B4A90
	s_nop 0                                                    // 000000008810: BF800000
	v_cndmask_b32_e64 v33, v23, v33, s[36:37]                  // 000000008814: D1000021 00924317

000000000000881c <label_641C>:
	s_add_u32 s83, s84, s83                                    // 00000000881C: 80535354
	s_nop 2                                                    // 000000008820: BF800002
	v_mov_b32_e32 v23, v26                                     // 000000008824: 7E2E031A
	v_max3_f32 v23, v26, v27, v23                              // 000000008828: D1D30017 045E371A
	v_max3_f32 v23, v28, v29, v23                              // 000000008830: D1D30017 045E3B1C
	v_max3_f32 v23, v30, v31, v23                              // 000000008838: D1D30017 045E3F1E
	v_max3_f32 v23, v32, v33, v23                              // 000000008840: D1D30017 045E4320
	v_mov_b32_e32 v22, v23                                     // 000000008848: 7E2C0317
	v_mov_b32_e32 v23, v23                                     // 00000000884C: 7E2E0317
	s_nop 1                                                    // 000000008850: BF800001
	v_permlane16_swap_b32_e32 v22, v23                         // 000000008854: 7E2CB317
	v_mov_b32_e32 v25, v22                                     // 000000008858: 7E320316
	v_mov_b32_e32 v24, v23                                     // 00000000885C: 7E300317
	s_nop 1                                                    // 000000008860: BF800001
	v_permlane32_swap_b32_e32 v22, v23                         // 000000008864: 7E2CB517
	v_permlane32_swap_b32_e32 v24, v25                         // 000000008868: 7E30B519
	v_max3_f32 v23, v22, v23, v23                              // 00000000886C: D1D30017 045E2F16
	v_max3_f32 v23, v24, v25, v23                              // 000000008874: D1D30017 045E3318
	v_mov_b32_e32 v22, 0xff800000                              // 00000000887C: 7E2C02FF FF800000
	v_cmp_eq_u32_e64 s[36:37], v22, v2                         // 000000008884: D0CA0024 00020516
	v_max_f32_e32 v23, v23, v2                                 // 00000000888C: 162E0517
	v_sub_f32_e32 v12, v2, v23                                 // 000000008890: 04182F02
	v_cndmask_b32_e64 v12, v12, 0, s[36:37]                    // 000000008894: D100000C 0091010C
	v_mov_b32_e32 v2, v23                                      // 00000000889C: 7E040317
	v_mul_f32_e32 v23, s5, v23                                 // 0000000088A0: 0A2E2E05
	v_mul_f32_e32 v12, s5, v12                                 // 0000000088A4: 0A181805
	v_exp_f32_e32 v12, v12                                     // 0000000088A8: 7E18410C
	v_fma_f32 v26, v26, s5, -v23                               // 0000000088AC: D1CB001A 845C0B1A
	v_fma_f32 v27, v27, s5, -v23                               // 0000000088B4: D1CB001B 845C0B1B
	v_fma_f32 v28, v28, s5, -v23                               // 0000000088BC: D1CB001C 845C0B1C
	v_fma_f32 v29, v29, s5, -v23                               // 0000000088C4: D1CB001D 845C0B1D
	v_fma_f32 v30, v30, s5, -v23                               // 0000000088CC: D1CB001E 845C0B1E
	v_fma_f32 v31, v31, s5, -v23                               // 0000000088D4: D1CB001F 845C0B1F
	v_fma_f32 v32, v32, s5, -v23                               // 0000000088DC: D1CB0020 845C0B20
	v_fma_f32 v33, v33, s5, -v23                               // 0000000088E4: D1CB0021 845C0B21
	v_exp_f32_e32 v26, v26                                     // 0000000088EC: 7E34411A
	v_exp_f32_e32 v27, v27                                     // 0000000088F0: 7E36411B
	v_exp_f32_e32 v28, v28                                     // 0000000088F4: 7E38411C
	v_exp_f32_e32 v29, v29                                     // 0000000088F8: 7E3A411D
	v_exp_f32_e32 v30, v30                                     // 0000000088FC: 7E3C411E
	v_exp_f32_e32 v31, v31                                     // 000000008900: 7E3E411F
	v_exp_f32_e32 v32, v32                                     // 000000008904: 7E404120
	v_exp_f32_e32 v33, v33                                     // 000000008908: 7E424121
	v_mul_f32_e32 v4, v12, v4                                  // 00000000890C: 0A08090C
	v_mov_b32_e32 v22, v26                                     // 000000008910: 7E2C031A
	v_add_f32_e32 v22, v27, v22                                // 000000008914: 022C2D1B
	v_add_f32_e32 v22, v28, v22                                // 000000008918: 022C2D1C
	v_add_f32_e32 v22, v29, v22                                // 00000000891C: 022C2D1D
	v_add_f32_e32 v22, v30, v22                                // 000000008920: 022C2D1E
	v_add_f32_e32 v22, v31, v22                                // 000000008924: 022C2D1F
	v_add_f32_e32 v22, v32, v22                                // 000000008928: 022C2D20
	v_add_f32_e32 v22, v33, v22                                // 00000000892C: 022C2D21
	v_add_f32_e32 v4, v22, v4                                  // 000000008930: 02080916
	v_cvt_pk_bf16_f32 v26, v26, v27                            // 000000008934: D268001A 0002371A
	v_cvt_pk_bf16_f32 v27, v28, v29                            // 00000000893C: D268001B 00023B1C
	v_cvt_pk_bf16_f32 v28, v30, v31                            // 000000008944: D268001C 00023F1E
	v_cvt_pk_bf16_f32 v29, v32, v33                            // 00000000894C: D268001D 00024320
	s_nop 0                                                    // 000000008954: BF800000
	v_permlane32_swap_b32_e32 v26, v28                         // 000000008958: 7E34B51C
	v_permlane32_swap_b32_e32 v27, v29                         // 00000000895C: 7E36B51D
	s_nop 0                                                    // 000000008960: BF800000
	v_permlane16_swap_b32_e32 v26, v28                         // 000000008964: 7E34B31C
	v_permlane16_swap_b32_e32 v27, v29                         // 000000008968: 7E36B31D
	v_mul_f32_e32 v34, v12, v34                                // 00000000896C: 0A44450C
	v_mul_f32_e32 v35, v12, v35                                // 000000008970: 0A46470C
	v_mul_f32_e32 v36, v12, v36                                // 000000008974: 0A48490C
	v_mul_f32_e32 v37, v12, v37                                // 000000008978: 0A4A4B0C
	v_mul_f32_e32 v38, v12, v38                                // 00000000897C: 0A4C4D0C
	v_mul_f32_e32 v39, v12, v39                                // 000000008980: 0A4E4F0C
	v_mul_f32_e32 v40, v12, v40                                // 000000008984: 0A50510C
	v_mul_f32_e32 v41, v12, v41                                // 000000008988: 0A52530C
	v_mul_f32_e32 v42, v12, v42                                // 00000000898C: 0A54550C
	v_mul_f32_e32 v43, v12, v43                                // 000000008990: 0A56570C
	v_mul_f32_e32 v44, v12, v44                                // 000000008994: 0A58590C
	v_mul_f32_e32 v45, v12, v45                                // 000000008998: 0A5A5B0C
	v_mul_f32_e32 v46, v12, v46                                // 00000000899C: 0A5C5D0C
	v_mul_f32_e32 v47, v12, v47                                // 0000000089A0: 0A5E5F0C
	v_mul_f32_e32 v48, v12, v48                                // 0000000089A4: 0A60610C
	v_mul_f32_e32 v49, v12, v49                                // 0000000089A8: 0A62630C
	v_mul_f32_e32 v50, v12, v50                                // 0000000089AC: 0A64650C
	v_mul_f32_e32 v51, v12, v51                                // 0000000089B0: 0A66670C
	v_mul_f32_e32 v52, v12, v52                                // 0000000089B4: 0A68690C
	v_mul_f32_e32 v53, v12, v53                                // 0000000089B8: 0A6A6B0C
	v_mul_f32_e32 v54, v12, v54                                // 0000000089BC: 0A6C6D0C
	v_mul_f32_e32 v55, v12, v55                                // 0000000089C0: 0A6E6F0C
	v_mul_f32_e32 v56, v12, v56                                // 0000000089C4: 0A70710C
	v_mul_f32_e32 v57, v12, v57                                // 0000000089C8: 0A72730C
	v_mul_f32_e32 v58, v12, v58                                // 0000000089CC: 0A74750C
	v_mul_f32_e32 v59, v12, v59                                // 0000000089D0: 0A76770C
	v_mul_f32_e32 v60, v12, v60                                // 0000000089D4: 0A78790C
	v_mul_f32_e32 v61, v12, v61                                // 0000000089D8: 0A7A7B0C
	v_mul_f32_e32 v62, v12, v62                                // 0000000089DC: 0A7C7D0C
	v_mul_f32_e32 v63, v12, v63                                // 0000000089E0: 0A7E7F0C
	v_mul_f32_e32 v64, v12, v64                                // 0000000089E4: 0A80810C
	v_mul_f32_e32 v65, v12, v65                                // 0000000089E8: 0A82830C
	v_mul_f32_e32 v66, v12, v66                                // 0000000089EC: 0A84850C
	v_mul_f32_e32 v67, v12, v67                                // 0000000089F0: 0A86870C
	v_mul_f32_e32 v68, v12, v68                                // 0000000089F4: 0A88890C
	v_mul_f32_e32 v69, v12, v69                                // 0000000089F8: 0A8A8B0C
	v_mul_f32_e32 v70, v12, v70                                // 0000000089FC: 0A8C8D0C
	v_mul_f32_e32 v71, v12, v71                                // 000000008A00: 0A8E8F0C
	v_mul_f32_e32 v72, v12, v72                                // 000000008A04: 0A90910C
	v_mul_f32_e32 v73, v12, v73                                // 000000008A08: 0A92930C
	v_mul_f32_e32 v74, v12, v74                                // 000000008A0C: 0A94950C
	v_mul_f32_e32 v75, v12, v75                                // 000000008A10: 0A96970C
	v_mul_f32_e32 v76, v12, v76                                // 000000008A14: 0A98990C
	v_mul_f32_e32 v77, v12, v77                                // 000000008A18: 0A9A9B0C
	v_mul_f32_e32 v78, v12, v78                                // 000000008A1C: 0A9C9D0C
	v_mul_f32_e32 v79, v12, v79                                // 000000008A20: 0A9E9F0C
	v_mul_f32_e32 v80, v12, v80                                // 000000008A24: 0AA0A10C
	v_mul_f32_e32 v81, v12, v81                                // 000000008A28: 0AA2A30C
	v_mul_f32_e32 v82, v12, v82                                // 000000008A2C: 0AA4A50C
	v_mul_f32_e32 v83, v12, v83                                // 000000008A30: 0AA6A70C
	v_mul_f32_e32 v84, v12, v84                                // 000000008A34: 0AA8A90C
	v_mul_f32_e32 v85, v12, v85                                // 000000008A38: 0AAAAB0C
	v_mul_f32_e32 v86, v12, v86                                // 000000008A3C: 0AACAD0C
	v_mul_f32_e32 v87, v12, v87                                // 000000008A40: 0AAEAF0C
	v_mul_f32_e32 v88, v12, v88                                // 000000008A44: 0AB0B10C
	v_mul_f32_e32 v89, v12, v89                                // 000000008A48: 0AB2B30C
	v_mul_f32_e32 v90, v12, v90                                // 000000008A4C: 0AB4B50C
	v_mul_f32_e32 v91, v12, v91                                // 000000008A50: 0AB6B70C
	v_mul_f32_e32 v92, v12, v92                                // 000000008A54: 0AB8B90C
	v_mul_f32_e32 v93, v12, v93                                // 000000008A58: 0ABABB0C
	v_mul_f32_e32 v94, v12, v94                                // 000000008A5C: 0ABCBD0C
	v_mul_f32_e32 v95, v12, v95                                // 000000008A60: 0ABEBF0C
	v_mul_f32_e32 v96, v12, v96                                // 000000008A64: 0AC0C10C
	v_mul_f32_e32 v97, v12, v97                                // 000000008A68: 0AC2C30C
	v_mul_f32_e32 v98, v12, v98                                // 000000008A6C: 0AC4C50C
	v_mul_f32_e32 v99, v12, v99                                // 000000008A70: 0AC6C70C
	v_mul_f32_e32 v100, v12, v100                              // 000000008A74: 0AC8C90C
	v_mul_f32_e32 v101, v12, v101                              // 000000008A78: 0ACACB0C
	v_mul_f32_e32 v102, v12, v102                              // 000000008A7C: 0ACCCD0C
	v_mul_f32_e32 v103, v12, v103                              // 000000008A80: 0ACECF0C
	v_mul_f32_e32 v104, v12, v104                              // 000000008A84: 0AD0D10C
	v_mul_f32_e32 v105, v12, v105                              // 000000008A88: 0AD2D30C
	v_mul_f32_e32 v106, v12, v106                              // 000000008A8C: 0AD4D50C
	v_mul_f32_e32 v107, v12, v107                              // 000000008A90: 0AD6D70C
	v_mul_f32_e32 v108, v12, v108                              // 000000008A94: 0AD8D90C
	v_mul_f32_e32 v109, v12, v109                              // 000000008A98: 0ADADB0C
	v_mul_f32_e32 v110, v12, v110                              // 000000008A9C: 0ADCDD0C
	v_mul_f32_e32 v111, v12, v111                              // 000000008AA0: 0ADEDF0C
	v_mul_f32_e32 v112, v12, v112                              // 000000008AA4: 0AE0E10C
	v_mul_f32_e32 v113, v12, v113                              // 000000008AA8: 0AE2E30C
	v_mul_f32_e32 v114, v12, v114                              // 000000008AAC: 0AE4E50C
	v_mul_f32_e32 v115, v12, v115                              // 000000008AB0: 0AE6E70C
	v_mul_f32_e32 v116, v12, v116                              // 000000008AB4: 0AE8E90C
	v_mul_f32_e32 v117, v12, v117                              // 000000008AB8: 0AEAEB0C
	v_mul_f32_e32 v118, v12, v118                              // 000000008ABC: 0AECED0C
	v_mul_f32_e32 v119, v12, v119                              // 000000008AC0: 0AEEEF0C
	v_mul_f32_e32 v120, v12, v120                              // 000000008AC4: 0AF0F10C
	v_mul_f32_e32 v121, v12, v121                              // 000000008AC8: 0AF2F30C
	v_mul_f32_e32 v122, v12, v122                              // 000000008ACC: 0AF4F50C
	v_mul_f32_e32 v123, v12, v123                              // 000000008AD0: 0AF6F70C
	v_mul_f32_e32 v124, v12, v124                              // 000000008AD4: 0AF8F90C
	v_mul_f32_e32 v125, v12, v125                              // 000000008AD8: 0AFAFB0C
	v_mul_f32_e32 v126, v12, v126                              // 000000008ADC: 0AFCFD0C
	v_mul_f32_e32 v127, v12, v127                              // 000000008AE0: 0AFEFF0C
	v_mul_f32_e32 v128, v12, v128                              // 000000008AE4: 0B01010C
	v_mul_f32_e32 v129, v12, v129                              // 000000008AE8: 0B03030C
	v_mul_f32_e32 v130, v12, v130                              // 000000008AEC: 0B05050C
	v_mul_f32_e32 v131, v12, v131                              // 000000008AF0: 0B07070C
	v_mul_f32_e32 v132, v12, v132                              // 000000008AF4: 0B09090C
	v_mul_f32_e32 v133, v12, v133                              // 000000008AF8: 0B0B0B0C
	v_mul_f32_e32 v134, v12, v134                              // 000000008AFC: 0B0D0D0C
	v_mul_f32_e32 v135, v12, v135                              // 000000008B00: 0B0F0F0C
	v_mul_f32_e32 v136, v12, v136                              // 000000008B04: 0B11110C
	v_mul_f32_e32 v137, v12, v137                              // 000000008B08: 0B13130C
	v_mul_f32_e32 v138, v12, v138                              // 000000008B0C: 0B15150C
	v_mul_f32_e32 v139, v12, v139                              // 000000008B10: 0B17170C
	v_mul_f32_e32 v140, v12, v140                              // 000000008B14: 0B19190C
	v_mul_f32_e32 v141, v12, v141                              // 000000008B18: 0B1B1B0C
	v_mul_f32_e32 v142, v12, v142                              // 000000008B1C: 0B1D1D0C
	v_mul_f32_e32 v143, v12, v143                              // 000000008B20: 0B1F1F0C
	v_mul_f32_e32 v144, v12, v144                              // 000000008B24: 0B21210C
	v_mul_f32_e32 v145, v12, v145                              // 000000008B28: 0B23230C
	v_mul_f32_e32 v146, v12, v146                              // 000000008B2C: 0B25250C
	v_mul_f32_e32 v147, v12, v147                              // 000000008B30: 0B27270C
	v_mul_f32_e32 v148, v12, v148                              // 000000008B34: 0B29290C
	v_mul_f32_e32 v149, v12, v149                              // 000000008B38: 0B2B2B0C
	v_mul_f32_e32 v150, v12, v150                              // 000000008B3C: 0B2D2D0C
	v_mul_f32_e32 v151, v12, v151                              // 000000008B40: 0B2F2F0C
	v_mul_f32_e32 v152, v12, v152                              // 000000008B44: 0B31310C
	v_mul_f32_e32 v153, v12, v153                              // 000000008B48: 0B33330C
	v_mul_f32_e32 v154, v12, v154                              // 000000008B4C: 0B35350C
	v_mul_f32_e32 v155, v12, v155                              // 000000008B50: 0B37370C
	v_mul_f32_e32 v156, v12, v156                              // 000000008B54: 0B39390C
	v_mul_f32_e32 v157, v12, v157                              // 000000008B58: 0B3B3B0C
	v_mul_f32_e32 v158, v12, v158                              // 000000008B5C: 0B3D3D0C
	v_mul_f32_e32 v159, v12, v159                              // 000000008B60: 0B3F3F0C
	v_mul_f32_e32 v160, v12, v160                              // 000000008B64: 0B41410C
	v_mul_f32_e32 v161, v12, v161                              // 000000008B68: 0B43430C
	v_mfma_f32_16x16x32_bf16 v[34:37], a[144:147], v[26:29], v[34:37]// 000000008B6C: D3B50022 0C8A3590
	v_mfma_f32_16x16x32_bf16 v[38:41], a[148:151], v[26:29], v[38:41]// 000000008B74: D3B50026 0C9A3594
	v_mfma_f32_16x16x32_bf16 v[42:45], a[152:155], v[26:29], v[42:45]// 000000008B7C: D3B5002A 0CAA3598
	v_mfma_f32_16x16x32_bf16 v[46:49], a[156:159], v[26:29], v[46:49]// 000000008B84: D3B5002E 0CBA359C
	v_mfma_f32_16x16x32_bf16 v[50:53], a[160:163], v[26:29], v[50:53]// 000000008B8C: D3B50032 0CCA35A0
	v_mfma_f32_16x16x32_bf16 v[54:57], a[164:167], v[26:29], v[54:57]// 000000008B94: D3B50036 0CDA35A4
	v_mfma_f32_16x16x32_bf16 v[58:61], a[168:171], v[26:29], v[58:61]// 000000008B9C: D3B5003A 0CEA35A8
	v_mfma_f32_16x16x32_bf16 v[62:65], a[172:175], v[26:29], v[62:65]// 000000008BA4: D3B5003E 0CFA35AC
	v_mfma_f32_16x16x32_bf16 v[66:69], a[176:179], v[26:29], v[66:69]// 000000008BAC: D3B50042 0D0A35B0
	v_mfma_f32_16x16x32_bf16 v[70:73], a[180:183], v[26:29], v[70:73]// 000000008BB4: D3B50046 0D1A35B4
	v_mfma_f32_16x16x32_bf16 v[74:77], a[184:187], v[26:29], v[74:77]// 000000008BBC: D3B5004A 0D2A35B8
	ds_read_b64_tr_b16 a[144:145], v10 offset:8192             // 000000008BC4: DBC62000 9000000A
	ds_read_b64_tr_b16 a[146:147], v10 offset:8448             // 000000008BCC: DBC62100 9200000A
	ds_read_b64_tr_b16 a[148:149], v11 offset:8192             // 000000008BD4: DBC62000 9400000B
	ds_read_b64_tr_b16 a[150:151], v11 offset:8448             // 000000008BDC: DBC62100 9600000B
	v_mfma_f32_16x16x32_bf16 v[78:81], a[188:191], v[26:29], v[78:81]// 000000008BE4: D3B5004E 0D3A35BC
	ds_read_b64_tr_b16 a[152:153], v10 offset:9216             // 000000008BEC: DBC62400 9800000A
	ds_read_b64_tr_b16 a[154:155], v10 offset:9472             // 000000008BF4: DBC62500 9A00000A
	ds_read_b64_tr_b16 a[156:157], v11 offset:9216             // 000000008BFC: DBC62400 9C00000B
	ds_read_b64_tr_b16 a[158:159], v11 offset:9472             // 000000008C04: DBC62500 9E00000B
	v_mfma_f32_16x16x32_bf16 v[82:85], a[192:195], v[26:29], v[82:85]// 000000008C0C: D3B50052 0D4A35C0
	ds_read_b64_tr_b16 a[160:161], v10 offset:10240            // 000000008C14: DBC62800 A000000A
	ds_read_b64_tr_b16 a[162:163], v10 offset:10496            // 000000008C1C: DBC62900 A200000A
	ds_read_b64_tr_b16 a[164:165], v11 offset:10240            // 000000008C24: DBC62800 A400000B
	ds_read_b64_tr_b16 a[166:167], v11 offset:10496            // 000000008C2C: DBC62900 A600000B
	v_mfma_f32_16x16x32_bf16 v[86:89], a[196:199], v[26:29], v[86:89]// 000000008C34: D3B50056 0D5A35C4
	ds_read_b64_tr_b16 a[168:169], v10 offset:11264            // 000000008C3C: DBC62C00 A800000A
	ds_read_b64_tr_b16 a[170:171], v10 offset:11520            // 000000008C44: DBC62D00 AA00000A
	ds_read_b64_tr_b16 a[172:173], v11 offset:11264            // 000000008C4C: DBC62C00 AC00000B
	ds_read_b64_tr_b16 a[174:175], v11 offset:11520            // 000000008C54: DBC62D00 AE00000B
	v_mfma_f32_16x16x32_bf16 v[90:93], a[200:203], v[26:29], v[90:93]// 000000008C5C: D3B5005A 0D6A35C8
	ds_read_b64_tr_b16 a[176:177], v10 offset:12288            // 000000008C64: DBC63000 B000000A
	ds_read_b64_tr_b16 a[178:179], v10 offset:12544            // 000000008C6C: DBC63100 B200000A
	ds_read_b64_tr_b16 a[180:181], v11 offset:12288            // 000000008C74: DBC63000 B400000B
	ds_read_b64_tr_b16 a[182:183], v11 offset:12544            // 000000008C7C: DBC63100 B600000B
	v_mfma_f32_16x16x32_bf16 v[94:97], a[204:207], v[26:29], v[94:97]// 000000008C84: D3B5005E 0D7A35CC
	ds_read_b64_tr_b16 a[184:185], v10 offset:13312            // 000000008C8C: DBC63400 B800000A
	ds_read_b64_tr_b16 a[186:187], v10 offset:13568            // 000000008C94: DBC63500 BA00000A
	ds_read_b64_tr_b16 a[188:189], v11 offset:13312            // 000000008C9C: DBC63400 BC00000B
	ds_read_b64_tr_b16 a[190:191], v11 offset:13568            // 000000008CA4: DBC63500 BE00000B
	ds_read_b64_tr_b16 a[192:193], v10 offset:14336            // 000000008CAC: DBC63800 C000000A
	ds_read_b64_tr_b16 a[194:195], v10 offset:14592            // 000000008CB4: DBC63900 C200000A
	ds_read_b64_tr_b16 a[196:197], v11 offset:14336            // 000000008CBC: DBC63800 C400000B
	ds_read_b64_tr_b16 a[198:199], v11 offset:14592            // 000000008CC4: DBC63900 C600000B
	ds_read_b64_tr_b16 a[200:201], v10 offset:15360            // 000000008CCC: DBC63C00 C800000A
	ds_read_b64_tr_b16 a[202:203], v10 offset:15616            // 000000008CD4: DBC63D00 CA00000A
	ds_read_b64_tr_b16 a[204:205], v11 offset:15360            // 000000008CDC: DBC63C00 CC00000B
	ds_read_b64_tr_b16 a[206:207], v11 offset:15616            // 000000008CE4: DBC63D00 CE00000B
	s_waitcnt lgkmcnt(0)                                       // 000000008CEC: BF8CC07F
	v_mfma_f32_16x16x32_bf16 v[98:101], a[144:147], v[26:29], v[98:101]// 000000008CF0: D3B50062 0D8A3590
	v_mfma_f32_16x16x32_bf16 v[102:105], a[148:151], v[26:29], v[102:105]// 000000008CF8: D3B50066 0D9A3594
	v_mfma_f32_16x16x32_bf16 v[106:109], a[152:155], v[26:29], v[106:109]// 000000008D00: D3B5006A 0DAA3598
	v_mfma_f32_16x16x32_bf16 v[110:113], a[156:159], v[26:29], v[110:113]// 000000008D08: D3B5006E 0DBA359C
	v_mfma_f32_16x16x32_bf16 v[114:117], a[160:163], v[26:29], v[114:117]// 000000008D10: D3B50072 0DCA35A0
	v_mfma_f32_16x16x32_bf16 v[118:121], a[164:167], v[26:29], v[118:121]// 000000008D18: D3B50076 0DDA35A4
	v_mfma_f32_16x16x32_bf16 v[122:125], a[168:171], v[26:29], v[122:125]// 000000008D20: D3B5007A 0DEA35A8
	v_mfma_f32_16x16x32_bf16 v[126:129], a[172:175], v[26:29], v[126:129]// 000000008D28: D3B5007E 0DFA35AC
	v_mfma_f32_16x16x32_bf16 v[130:133], a[176:179], v[26:29], v[130:133]// 000000008D30: D3B50082 0E0A35B0
	v_mfma_f32_16x16x32_bf16 v[134:137], a[180:183], v[26:29], v[134:137]// 000000008D38: D3B50086 0E1A35B4
	v_mfma_f32_16x16x32_bf16 v[138:141], a[184:187], v[26:29], v[138:141]// 000000008D40: D3B5008A 0E2A35B8
	v_mfma_f32_16x16x32_bf16 v[142:145], a[188:191], v[26:29], v[142:145]// 000000008D48: D3B5008E 0E3A35BC
	v_mfma_f32_16x16x32_bf16 v[146:149], a[192:195], v[26:29], v[146:149]// 000000008D50: D3B50092 0E4A35C0
	v_mfma_f32_16x16x32_bf16 v[150:153], a[196:199], v[26:29], v[150:153]// 000000008D58: D3B50096 0E5A35C4
	v_mfma_f32_16x16x32_bf16 v[154:157], a[200:203], v[26:29], v[154:157]// 000000008D60: D3B5009A 0E6A35C8
	v_mfma_f32_16x16x32_bf16 v[158:161], a[204:207], v[26:29], v[158:161]// 000000008D68: D3B5009E 0E7A35CC
	s_nop 8                                                    // 000000008D70: BF800008
	s_branch label_6B80                                        // 000000008D74: BF820000

0000000000008d78 <label_6B80>:
	v_mov_b32_e32 v22, v4                                      // 000000008D78: 7E2C0304
	v_mov_b32_e32 v23, v4                                      // 000000008D7C: 7E2E0304
	s_nop 1                                                    // 000000008D80: BF800001
	v_permlane16_swap_b32_e32 v22, v23                         // 000000008D84: 7E2CB317
	v_mov_b32_e32 v25, v22                                     // 000000008D88: 7E320316
	v_mov_b32_e32 v24, v23                                     // 000000008D8C: 7E300317
	s_nop 1                                                    // 000000008D90: BF800001
	v_permlane32_swap_b32_e32 v22, v23                         // 000000008D94: 7E2CB517
	v_permlane32_swap_b32_e32 v24, v25                         // 000000008D98: 7E30B519
	v_mov_b32_e32 v4, 0                                        // 000000008D9C: 7E080280
	v_add_f32_e32 v4, v22, v4                                  // 000000008DA0: 02080916
	v_add_f32_e32 v4, v23, v4                                  // 000000008DA4: 02080917
	v_add_f32_e32 v4, v24, v4                                  // 000000008DA8: 02080918
	v_add_f32_e32 v4, v25, v4                                  // 000000008DAC: 02080919
	v_mov_b32_e32 v22, 0                                       // 000000008DB0: 7E2C0280
	v_cmp_eq_u32_e64 s[36:37], v22, v4                         // 000000008DB4: D0CA0024 00020916
	v_mul_f32_e64 v22, v2, s64                                 // 000000008DBC: D1050016 00008102
	v_log_f32_e32 v23, v4                                      // 000000008DC4: 7E2E4304
	s_nop 1                                                    // 000000008DC8: BF800001
	v_rcp_f32_e32 v4, v4                                       // 000000008DCC: 7E084504
	s_nop 1                                                    // 000000008DD0: BF800001
	v_fma_f32 v1, v23, s63, v22                                // 000000008DD4: D1CB0001 04587F17
	v_mul_f32_e32 v34, v4, v34                                 // 000000008DDC: 0A444504
	v_mul_f32_e32 v35, v4, v35                                 // 000000008DE0: 0A464704
	v_mul_f32_e32 v36, v4, v36                                 // 000000008DE4: 0A484904
	v_mul_f32_e32 v37, v4, v37                                 // 000000008DE8: 0A4A4B04
	v_mul_f32_e32 v38, v4, v38                                 // 000000008DEC: 0A4C4D04
	v_mul_f32_e32 v39, v4, v39                                 // 000000008DF0: 0A4E4F04
	v_mul_f32_e32 v40, v4, v40                                 // 000000008DF4: 0A505104
	v_mul_f32_e32 v41, v4, v41                                 // 000000008DF8: 0A525304
	v_mul_f32_e32 v42, v4, v42                                 // 000000008DFC: 0A545504
	v_mul_f32_e32 v43, v4, v43                                 // 000000008E00: 0A565704
	v_mul_f32_e32 v44, v4, v44                                 // 000000008E04: 0A585904
	v_mul_f32_e32 v45, v4, v45                                 // 000000008E08: 0A5A5B04
	v_mul_f32_e32 v46, v4, v46                                 // 000000008E0C: 0A5C5D04
	v_mul_f32_e32 v47, v4, v47                                 // 000000008E10: 0A5E5F04
	v_mul_f32_e32 v48, v4, v48                                 // 000000008E14: 0A606104
	v_mul_f32_e32 v49, v4, v49                                 // 000000008E18: 0A626304
	v_mul_f32_e32 v50, v4, v50                                 // 000000008E1C: 0A646504
	v_mul_f32_e32 v51, v4, v51                                 // 000000008E20: 0A666704
	v_mul_f32_e32 v52, v4, v52                                 // 000000008E24: 0A686904
	v_mul_f32_e32 v53, v4, v53                                 // 000000008E28: 0A6A6B04
	v_mul_f32_e32 v54, v4, v54                                 // 000000008E2C: 0A6C6D04
	v_mul_f32_e32 v55, v4, v55                                 // 000000008E30: 0A6E6F04
	v_mul_f32_e32 v56, v4, v56                                 // 000000008E34: 0A707104
	v_mul_f32_e32 v57, v4, v57                                 // 000000008E38: 0A727304
	v_mul_f32_e32 v58, v4, v58                                 // 000000008E3C: 0A747504
	v_mul_f32_e32 v59, v4, v59                                 // 000000008E40: 0A767704
	v_mul_f32_e32 v60, v4, v60                                 // 000000008E44: 0A787904
	v_mul_f32_e32 v61, v4, v61                                 // 000000008E48: 0A7A7B04
	v_mul_f32_e32 v62, v4, v62                                 // 000000008E4C: 0A7C7D04
	v_mul_f32_e32 v63, v4, v63                                 // 000000008E50: 0A7E7F04
	v_mul_f32_e32 v64, v4, v64                                 // 000000008E54: 0A808104
	v_mul_f32_e32 v65, v4, v65                                 // 000000008E58: 0A828304
	v_mul_f32_e32 v66, v4, v66                                 // 000000008E5C: 0A848504
	v_mul_f32_e32 v67, v4, v67                                 // 000000008E60: 0A868704
	v_mul_f32_e32 v68, v4, v68                                 // 000000008E64: 0A888904
	v_mul_f32_e32 v69, v4, v69                                 // 000000008E68: 0A8A8B04
	v_mul_f32_e32 v70, v4, v70                                 // 000000008E6C: 0A8C8D04
	v_mul_f32_e32 v71, v4, v71                                 // 000000008E70: 0A8E8F04
	v_mul_f32_e32 v72, v4, v72                                 // 000000008E74: 0A909104
	v_mul_f32_e32 v73, v4, v73                                 // 000000008E78: 0A929304
	v_mul_f32_e32 v74, v4, v74                                 // 000000008E7C: 0A949504
	v_mul_f32_e32 v75, v4, v75                                 // 000000008E80: 0A969704
	v_mul_f32_e32 v76, v4, v76                                 // 000000008E84: 0A989904
	v_mul_f32_e32 v77, v4, v77                                 // 000000008E88: 0A9A9B04
	v_mul_f32_e32 v78, v4, v78                                 // 000000008E8C: 0A9C9D04
	v_mul_f32_e32 v79, v4, v79                                 // 000000008E90: 0A9E9F04
	v_mul_f32_e32 v80, v4, v80                                 // 000000008E94: 0AA0A104
	v_mul_f32_e32 v81, v4, v81                                 // 000000008E98: 0AA2A304
	v_mul_f32_e32 v82, v4, v82                                 // 000000008E9C: 0AA4A504
	v_mul_f32_e32 v83, v4, v83                                 // 000000008EA0: 0AA6A704
	v_mul_f32_e32 v84, v4, v84                                 // 000000008EA4: 0AA8A904
	v_mul_f32_e32 v85, v4, v85                                 // 000000008EA8: 0AAAAB04
	v_mul_f32_e32 v86, v4, v86                                 // 000000008EAC: 0AACAD04
	v_mul_f32_e32 v87, v4, v87                                 // 000000008EB0: 0AAEAF04
	v_mul_f32_e32 v88, v4, v88                                 // 000000008EB4: 0AB0B104
	v_mul_f32_e32 v89, v4, v89                                 // 000000008EB8: 0AB2B304
	v_mul_f32_e32 v90, v4, v90                                 // 000000008EBC: 0AB4B504
	v_mul_f32_e32 v91, v4, v91                                 // 000000008EC0: 0AB6B704
	v_mul_f32_e32 v92, v4, v92                                 // 000000008EC4: 0AB8B904
	v_mul_f32_e32 v93, v4, v93                                 // 000000008EC8: 0ABABB04
	v_mul_f32_e32 v94, v4, v94                                 // 000000008ECC: 0ABCBD04
	v_mul_f32_e32 v95, v4, v95                                 // 000000008ED0: 0ABEBF04
	v_mul_f32_e32 v96, v4, v96                                 // 000000008ED4: 0AC0C104
	v_mul_f32_e32 v97, v4, v97                                 // 000000008ED8: 0AC2C304
	v_mul_f32_e32 v98, v4, v98                                 // 000000008EDC: 0AC4C504
	v_mul_f32_e32 v99, v4, v99                                 // 000000008EE0: 0AC6C704
	v_mul_f32_e32 v100, v4, v100                               // 000000008EE4: 0AC8C904
	v_mul_f32_e32 v101, v4, v101                               // 000000008EE8: 0ACACB04
	v_mul_f32_e32 v102, v4, v102                               // 000000008EEC: 0ACCCD04
	v_mul_f32_e32 v103, v4, v103                               // 000000008EF0: 0ACECF04
	v_mul_f32_e32 v104, v4, v104                               // 000000008EF4: 0AD0D104
	v_mul_f32_e32 v105, v4, v105                               // 000000008EF8: 0AD2D304
	v_mul_f32_e32 v106, v4, v106                               // 000000008EFC: 0AD4D504
	v_mul_f32_e32 v107, v4, v107                               // 000000008F00: 0AD6D704
	v_mul_f32_e32 v108, v4, v108                               // 000000008F04: 0AD8D904
	v_mul_f32_e32 v109, v4, v109                               // 000000008F08: 0ADADB04
	v_mul_f32_e32 v110, v4, v110                               // 000000008F0C: 0ADCDD04
	v_mul_f32_e32 v111, v4, v111                               // 000000008F10: 0ADEDF04
	v_mul_f32_e32 v112, v4, v112                               // 000000008F14: 0AE0E104
	v_mul_f32_e32 v113, v4, v113                               // 000000008F18: 0AE2E304
	v_mul_f32_e32 v114, v4, v114                               // 000000008F1C: 0AE4E504
	v_mul_f32_e32 v115, v4, v115                               // 000000008F20: 0AE6E704
	v_mul_f32_e32 v116, v4, v116                               // 000000008F24: 0AE8E904
	v_mul_f32_e32 v117, v4, v117                               // 000000008F28: 0AEAEB04
	v_mul_f32_e32 v118, v4, v118                               // 000000008F2C: 0AECED04
	v_mul_f32_e32 v119, v4, v119                               // 000000008F30: 0AEEEF04
	v_mul_f32_e32 v120, v4, v120                               // 000000008F34: 0AF0F104
	v_mul_f32_e32 v121, v4, v121                               // 000000008F38: 0AF2F304
	v_mul_f32_e32 v122, v4, v122                               // 000000008F3C: 0AF4F504
	v_mul_f32_e32 v123, v4, v123                               // 000000008F40: 0AF6F704
	v_mul_f32_e32 v124, v4, v124                               // 000000008F44: 0AF8F904
	v_mul_f32_e32 v125, v4, v125                               // 000000008F48: 0AFAFB04
	v_mul_f32_e32 v126, v4, v126                               // 000000008F4C: 0AFCFD04
	v_mul_f32_e32 v127, v4, v127                               // 000000008F50: 0AFEFF04
	v_mul_f32_e32 v128, v4, v128                               // 000000008F54: 0B010104
	v_mul_f32_e32 v129, v4, v129                               // 000000008F58: 0B030304
	v_mul_f32_e32 v130, v4, v130                               // 000000008F5C: 0B050504
	v_mul_f32_e32 v131, v4, v131                               // 000000008F60: 0B070704
	v_mul_f32_e32 v132, v4, v132                               // 000000008F64: 0B090904
	v_mul_f32_e32 v133, v4, v133                               // 000000008F68: 0B0B0B04
	v_mul_f32_e32 v134, v4, v134                               // 000000008F6C: 0B0D0D04
	v_mul_f32_e32 v135, v4, v135                               // 000000008F70: 0B0F0F04
	v_mul_f32_e32 v136, v4, v136                               // 000000008F74: 0B111104
	v_mul_f32_e32 v137, v4, v137                               // 000000008F78: 0B131304
	v_mul_f32_e32 v138, v4, v138                               // 000000008F7C: 0B151504
	v_mul_f32_e32 v139, v4, v139                               // 000000008F80: 0B171704
	v_mul_f32_e32 v140, v4, v140                               // 000000008F84: 0B191904
	v_mul_f32_e32 v141, v4, v141                               // 000000008F88: 0B1B1B04
	v_mul_f32_e32 v142, v4, v142                               // 000000008F8C: 0B1D1D04
	v_mul_f32_e32 v143, v4, v143                               // 000000008F90: 0B1F1F04
	v_mul_f32_e32 v144, v4, v144                               // 000000008F94: 0B212104
	v_mul_f32_e32 v145, v4, v145                               // 000000008F98: 0B232304
	v_mul_f32_e32 v146, v4, v146                               // 000000008F9C: 0B252504
	v_mul_f32_e32 v147, v4, v147                               // 000000008FA0: 0B272704
	v_mul_f32_e32 v148, v4, v148                               // 000000008FA4: 0B292904
	v_mul_f32_e32 v149, v4, v149                               // 000000008FA8: 0B2B2B04
	v_mul_f32_e32 v150, v4, v150                               // 000000008FAC: 0B2D2D04
	v_mul_f32_e32 v151, v4, v151                               // 000000008FB0: 0B2F2F04
	v_mul_f32_e32 v152, v4, v152                               // 000000008FB4: 0B313104
	v_mul_f32_e32 v153, v4, v153                               // 000000008FB8: 0B333304
	v_mul_f32_e32 v154, v4, v154                               // 000000008FBC: 0B353504
	v_mul_f32_e32 v155, v4, v155                               // 000000008FC0: 0B373704
	v_mul_f32_e32 v156, v4, v156                               // 000000008FC4: 0B393904
	v_mul_f32_e32 v157, v4, v157                               // 000000008FC8: 0B3B3B04
	v_mul_f32_e32 v158, v4, v158                               // 000000008FCC: 0B3D3D04
	v_mul_f32_e32 v159, v4, v159                               // 000000008FD0: 0B3F3F04
	v_mul_f32_e32 v160, v4, v160                               // 000000008FD4: 0B414104
	v_mul_f32_e32 v161, v4, v161                               // 000000008FD8: 0B434304
	s_cmp_lt_i32 s87, 0                                        // 000000008FDC: BF048057
	s_cbranch_scc1 label_74F4                                  // 000000008FE0: BF8501C2
	s_mul_i32 s75, 0x800, 16                                   // 000000008FE4: 924B90FF 00000800
	s_add_u32 s57, s87, s7                                     // 000000008FEC: 80390757
	s_mul_i32 s56, s57, s75                                    // 000000008FF0: 92384B39
	s_add_u32 s8, s56, s8                                      // 000000008FF4: 80080838
	s_addc_u32 s9, 0, s9                                       // 000000008FF8: 82090980
	s_mul_i32 s56, s75, s81                                    // 000000008FFC: 9238514B
	s_mov_b32 s10, s56                                         // 000000009000: BE8A0038
	v_lshrrev_b32_e32 v22, 5, v0                               // 000000009004: 202C0085
	s_mov_b32 s57, 0x800                                       // 000000009008: BEB900FF 00000800
	v_mul_i32_i24_e32 v22, s57, v22                            // 000000009010: 0C2C2C39
	v_and_b32_e32 v5, 31, v0                                   // 000000009014: 260A009F
	v_lshlrev_b32_e32 v5, 4, v5                                // 000000009018: 240A0A84
	v_add_u32_e32 v5, v5, v22                                  // 00000000901C: 680A2D05
	s_mul_i32 s57, 4, 16                                       // 000000009020: 92399084
	s_add_u32 s56, s87, s7                                     // 000000009024: 80380757
	s_mul_i32 s56, s56, s57                                    // 000000009028: 92383938
	s_add_u32 s12, s56, s12                                    // 00000000902C: 800C0C38
	s_addc_u32 s13, 0, s13                                     // 000000009030: 820D0D80
	s_mul_i32 s58, s57, s81                                    // 000000009034: 923A5139
	s_mov_b32 s14, s58                                         // 000000009038: BE8E003A
	v_and_b32_e32 v4, 15, v0                                   // 00000000903C: 2608008F
	v_lshlrev_b32_e32 v4, 2, v4                                // 000000009040: 24080882
	v_mov_b32_e32 v2, v5                                       // 000000009044: 7E040305
	s_waitcnt vmcnt(0) lgkmcnt(0)                              // 000000009048: BF8C0070
	v_lshlrev_b32_e32 v12, 2, v0                               // 00000000904C: 24180082
	s_mul_i32 s56, s7, 0x840                                   // 000000009050: 9238FF07 00000840
	v_add_u32_e32 v12, s56, v12                                // 000000009058: 68181838
	v_lshlrev_b32_e32 v12, 2, v12                              // 00000000905C: 24181882
	v_lshrrev_b32_e32 v22, 5, v0                               // 000000009060: 202C0085
	v_mul_i32_i24_e32 v3, 4, v22                               // 000000009064: 0C062C84
	v_and_b32_e32 v22, 31, v0                                  // 000000009068: 262C009F
	v_lshrrev_b32_e32 v22, 2, v22                              // 00000000906C: 202C2C82
	v_mul_i32_i24_e32 v22, 8, v22                              // 000000009070: 0C2C2C88
	v_add_u32_e32 v3, v22, v3                                  // 000000009074: 68060716
	v_and_b32_e32 v22, 31, v0                                  // 000000009078: 262C009F
	v_mul_i32_i24_e32 v22, 64, v22                             // 00000000907C: 0C2C2CC0
	v_add_u32_e32 v3, v22, v3                                  // 000000009080: 68060716
	s_mul_i32 s56, s7, 0x840                                   // 000000009084: 9238FF07 00000840
	v_add_u32_e32 v3, s56, v3                                  // 00000000908C: 68060638
	v_lshlrev_b32_e32 v3, 2, v3                                // 000000009090: 24060682
	s_mul_i32 s56, 0, s75                                      // 000000009094: 92384B80
	v_add_u32_e64 v2, v2, s56                                  // 000000009098: D1340002 00007102
	v_mov_b32_e32 v22, v34                                     // 0000000090A0: 7E2C0322
	v_mov_b32_e32 v23, v35                                     // 0000000090A4: 7E2E0323
	v_mov_b32_e32 v24, v36                                     // 0000000090A8: 7E300324
	v_mov_b32_e32 v25, v37                                     // 0000000090AC: 7E320325
	ds_write_b128 v12, v[22:25]                                // 0000000090B0: D9BE0000 0000160C
	v_mov_b32_e32 v22, v38                                     // 0000000090B8: 7E2C0326
	v_mov_b32_e32 v23, v39                                     // 0000000090BC: 7E2E0327
	v_mov_b32_e32 v24, v40                                     // 0000000090C0: 7E300328
	v_mov_b32_e32 v25, v41                                     // 0000000090C4: 7E320329
	ds_write_b128 v12, v[22:25] offset:1056                    // 0000000090C8: D9BE0420 0000160C
	v_mov_b32_e32 v22, v42                                     // 0000000090D0: 7E2C032A
	v_mov_b32_e32 v23, v43                                     // 0000000090D4: 7E2E032B
	v_mov_b32_e32 v24, v44                                     // 0000000090D8: 7E30032C
	v_mov_b32_e32 v25, v45                                     // 0000000090DC: 7E32032D
	ds_write_b128 v12, v[22:25] offset:2112                    // 0000000090E0: D9BE0840 0000160C
	v_mov_b32_e32 v22, v46                                     // 0000000090E8: 7E2C032E
	v_mov_b32_e32 v23, v47                                     // 0000000090EC: 7E2E032F
	v_mov_b32_e32 v24, v48                                     // 0000000090F0: 7E300330
	v_mov_b32_e32 v25, v49                                     // 0000000090F4: 7E320331
	ds_write_b128 v12, v[22:25] offset:3168                    // 0000000090F8: D9BE0C60 0000160C
	v_mov_b32_e32 v22, v50                                     // 000000009100: 7E2C0332
	v_mov_b32_e32 v23, v51                                     // 000000009104: 7E2E0333
	v_mov_b32_e32 v24, v52                                     // 000000009108: 7E300334
	v_mov_b32_e32 v25, v53                                     // 00000000910C: 7E320335
	ds_write_b128 v12, v[22:25] offset:4224                    // 000000009110: D9BE1080 0000160C
	v_mov_b32_e32 v22, v54                                     // 000000009118: 7E2C0336
	v_mov_b32_e32 v23, v55                                     // 00000000911C: 7E2E0337
	v_mov_b32_e32 v24, v56                                     // 000000009120: 7E300338
	v_mov_b32_e32 v25, v57                                     // 000000009124: 7E320339
	ds_write_b128 v12, v[22:25] offset:5280                    // 000000009128: D9BE14A0 0000160C
	v_mov_b32_e32 v22, v58                                     // 000000009130: 7E2C033A
	v_mov_b32_e32 v23, v59                                     // 000000009134: 7E2E033B
	v_mov_b32_e32 v24, v60                                     // 000000009138: 7E30033C
	v_mov_b32_e32 v25, v61                                     // 00000000913C: 7E32033D
	ds_write_b128 v12, v[22:25] offset:6336                    // 000000009140: D9BE18C0 0000160C
	v_mov_b32_e32 v22, v62                                     // 000000009148: 7E2C033E
	v_mov_b32_e32 v23, v63                                     // 00000000914C: 7E2E033F
	v_mov_b32_e32 v24, v64                                     // 000000009150: 7E300340
	v_mov_b32_e32 v25, v65                                     // 000000009154: 7E320341
	ds_write_b128 v12, v[22:25] offset:7392                    // 000000009158: D9BE1CE0 0000160C
	s_waitcnt lgkmcnt(4)                                       // 000000009160: BF8CC47F
	ds_read_b128 v[34:37], v3                                  // 000000009164: D9FE0000 22000003
	ds_read_b128 v[38:41], v3 offset:32                        // 00000000916C: D9FE0020 26000003
	ds_read_b128 v[42:45], v3 offset:64                        // 000000009174: D9FE0040 2A000003
	ds_read_b128 v[46:49], v3 offset:96                        // 00000000917C: D9FE0060 2E000003
	s_waitcnt lgkmcnt(4)                                       // 000000009184: BF8CC47F
	ds_read_b128 v[50:53], v3 offset:128                       // 000000009188: D9FE0080 32000003
	ds_read_b128 v[54:57], v3 offset:160                       // 000000009190: D9FE00A0 36000003
	ds_read_b128 v[58:61], v3 offset:192                       // 000000009198: D9FE00C0 3A000003
	ds_read_b128 v[62:65], v3 offset:224                       // 0000000091A0: D9FE00E0 3E000003
	s_waitcnt lgkmcnt(0)                                       // 0000000091A8: BF8CC07F
	v_mov_b32_e32 v5, v2                                       // 0000000091AC: 7E0A0302
	buffer_store_dwordx4 v[34:37], v5, s[8:11], 0 offen        // 0000000091B0: E07C1000 80022205
	v_add_u32_e32 v5, 0x1000, v5                               // 0000000091B8: 680A0AFF 00001000
	buffer_store_dwordx4 v[38:41], v5, s[8:11], 0 offen        // 0000000091C0: E07C1000 80022605
	v_add_u32_e32 v5, 0x1000, v5                               // 0000000091C8: 680A0AFF 00001000
	buffer_store_dwordx4 v[42:45], v5, s[8:11], 0 offen        // 0000000091D0: E07C1000 80022A05
	v_add_u32_e32 v5, 0x1000, v5                               // 0000000091D8: 680A0AFF 00001000
	buffer_store_dwordx4 v[46:49], v5, s[8:11], 0 offen        // 0000000091E0: E07C1000 80022E05
	v_add_u32_e32 v5, 0x1000, v5                               // 0000000091E8: 680A0AFF 00001000
	buffer_store_dwordx4 v[50:53], v5, s[8:11], 0 offen        // 0000000091F0: E07C1000 80023205
	v_add_u32_e32 v5, 0x1000, v5                               // 0000000091F8: 680A0AFF 00001000
	buffer_store_dwordx4 v[54:57], v5, s[8:11], 0 offen        // 000000009200: E07C1000 80023605
	v_add_u32_e32 v5, 0x1000, v5                               // 000000009208: 680A0AFF 00001000
	buffer_store_dwordx4 v[58:61], v5, s[8:11], 0 offen        // 000000009210: E07C1000 80023A05
	v_add_u32_e32 v5, 0x1000, v5                               // 000000009218: 680A0AFF 00001000
	buffer_store_dwordx4 v[62:65], v5, s[8:11], 0 offen        // 000000009220: E07C1000 80023E05
	v_add_u32_e32 v5, 0x1000, v5                               // 000000009228: 680A0AFF 00001000
	v_mov_b32_e32 v22, v66                                     // 000000009230: 7E2C0342
	v_mov_b32_e32 v23, v67                                     // 000000009234: 7E2E0343
	v_mov_b32_e32 v24, v68                                     // 000000009238: 7E300344
	v_mov_b32_e32 v25, v69                                     // 00000000923C: 7E320345
	ds_write_b128 v12, v[22:25]                                // 000000009240: D9BE0000 0000160C
	v_mov_b32_e32 v22, v70                                     // 000000009248: 7E2C0346
	v_mov_b32_e32 v23, v71                                     // 00000000924C: 7E2E0347
	v_mov_b32_e32 v24, v72                                     // 000000009250: 7E300348
	v_mov_b32_e32 v25, v73                                     // 000000009254: 7E320349
	ds_write_b128 v12, v[22:25] offset:1056                    // 000000009258: D9BE0420 0000160C
	v_mov_b32_e32 v22, v74                                     // 000000009260: 7E2C034A
	v_mov_b32_e32 v23, v75                                     // 000000009264: 7E2E034B
	v_mov_b32_e32 v24, v76                                     // 000000009268: 7E30034C
	v_mov_b32_e32 v25, v77                                     // 00000000926C: 7E32034D
	ds_write_b128 v12, v[22:25] offset:2112                    // 000000009270: D9BE0840 0000160C
	v_mov_b32_e32 v22, v78                                     // 000000009278: 7E2C034E
	v_mov_b32_e32 v23, v79                                     // 00000000927C: 7E2E034F
	v_mov_b32_e32 v24, v80                                     // 000000009280: 7E300350
	v_mov_b32_e32 v25, v81                                     // 000000009284: 7E320351
	ds_write_b128 v12, v[22:25] offset:3168                    // 000000009288: D9BE0C60 0000160C
	v_mov_b32_e32 v22, v82                                     // 000000009290: 7E2C0352
	v_mov_b32_e32 v23, v83                                     // 000000009294: 7E2E0353
	v_mov_b32_e32 v24, v84                                     // 000000009298: 7E300354
	v_mov_b32_e32 v25, v85                                     // 00000000929C: 7E320355
	ds_write_b128 v12, v[22:25] offset:4224                    // 0000000092A0: D9BE1080 0000160C
	v_mov_b32_e32 v22, v86                                     // 0000000092A8: 7E2C0356
	v_mov_b32_e32 v23, v87                                     // 0000000092AC: 7E2E0357
	v_mov_b32_e32 v24, v88                                     // 0000000092B0: 7E300358
	v_mov_b32_e32 v25, v89                                     // 0000000092B4: 7E320359
	ds_write_b128 v12, v[22:25] offset:5280                    // 0000000092B8: D9BE14A0 0000160C
	v_mov_b32_e32 v22, v90                                     // 0000000092C0: 7E2C035A
	v_mov_b32_e32 v23, v91                                     // 0000000092C4: 7E2E035B
	v_mov_b32_e32 v24, v92                                     // 0000000092C8: 7E30035C
	v_mov_b32_e32 v25, v93                                     // 0000000092CC: 7E32035D
	ds_write_b128 v12, v[22:25] offset:6336                    // 0000000092D0: D9BE18C0 0000160C
	v_mov_b32_e32 v22, v94                                     // 0000000092D8: 7E2C035E
	v_mov_b32_e32 v23, v95                                     // 0000000092DC: 7E2E035F
	v_mov_b32_e32 v24, v96                                     // 0000000092E0: 7E300360
	v_mov_b32_e32 v25, v97                                     // 0000000092E4: 7E320361
	ds_write_b128 v12, v[22:25] offset:7392                    // 0000000092E8: D9BE1CE0 0000160C
	s_waitcnt lgkmcnt(4)                                       // 0000000092F0: BF8CC47F
	ds_read_b128 v[34:37], v3                                  // 0000000092F4: D9FE0000 22000003
	ds_read_b128 v[38:41], v3 offset:32                        // 0000000092FC: D9FE0020 26000003
	ds_read_b128 v[42:45], v3 offset:64                        // 000000009304: D9FE0040 2A000003
	ds_read_b128 v[46:49], v3 offset:96                        // 00000000930C: D9FE0060 2E000003
	s_waitcnt lgkmcnt(4)                                       // 000000009314: BF8CC47F
	ds_read_b128 v[50:53], v3 offset:128                       // 000000009318: D9FE0080 32000003
	ds_read_b128 v[54:57], v3 offset:160                       // 000000009320: D9FE00A0 36000003
	ds_read_b128 v[58:61], v3 offset:192                       // 000000009328: D9FE00C0 3A000003
	ds_read_b128 v[62:65], v3 offset:224                       // 000000009330: D9FE00E0 3E000003
	s_waitcnt lgkmcnt(0)                                       // 000000009338: BF8CC07F
	v_mov_b32_e32 v5, v2                                       // 00000000933C: 7E0A0302
	buffer_store_dwordx4 v[34:37], v5, s[8:11], 0 offen offset:512// 000000009340: E07C1200 80022205
	v_add_u32_e32 v5, 0x1000, v5                               // 000000009348: 680A0AFF 00001000
	buffer_store_dwordx4 v[38:41], v5, s[8:11], 0 offen offset:512// 000000009350: E07C1200 80022605
	v_add_u32_e32 v5, 0x1000, v5                               // 000000009358: 680A0AFF 00001000
	buffer_store_dwordx4 v[42:45], v5, s[8:11], 0 offen offset:512// 000000009360: E07C1200 80022A05
	v_add_u32_e32 v5, 0x1000, v5                               // 000000009368: 680A0AFF 00001000
	buffer_store_dwordx4 v[46:49], v5, s[8:11], 0 offen offset:512// 000000009370: E07C1200 80022E05
	v_add_u32_e32 v5, 0x1000, v5                               // 000000009378: 680A0AFF 00001000
	buffer_store_dwordx4 v[50:53], v5, s[8:11], 0 offen offset:512// 000000009380: E07C1200 80023205
	v_add_u32_e32 v5, 0x1000, v5                               // 000000009388: 680A0AFF 00001000
	buffer_store_dwordx4 v[54:57], v5, s[8:11], 0 offen offset:512// 000000009390: E07C1200 80023605
	v_add_u32_e32 v5, 0x1000, v5                               // 000000009398: 680A0AFF 00001000
	buffer_store_dwordx4 v[58:61], v5, s[8:11], 0 offen offset:512// 0000000093A0: E07C1200 80023A05
	v_add_u32_e32 v5, 0x1000, v5                               // 0000000093A8: 680A0AFF 00001000
	buffer_store_dwordx4 v[62:65], v5, s[8:11], 0 offen offset:512// 0000000093B0: E07C1200 80023E05
	v_add_u32_e32 v5, 0x1000, v5                               // 0000000093B8: 680A0AFF 00001000
	v_mov_b32_e32 v22, v98                                     // 0000000093C0: 7E2C0362
	v_mov_b32_e32 v23, v99                                     // 0000000093C4: 7E2E0363
	v_mov_b32_e32 v24, v100                                    // 0000000093C8: 7E300364
	v_mov_b32_e32 v25, v101                                    // 0000000093CC: 7E320365
	ds_write_b128 v12, v[22:25]                                // 0000000093D0: D9BE0000 0000160C
	v_mov_b32_e32 v22, v102                                    // 0000000093D8: 7E2C0366
	v_mov_b32_e32 v23, v103                                    // 0000000093DC: 7E2E0367
	v_mov_b32_e32 v24, v104                                    // 0000000093E0: 7E300368
	v_mov_b32_e32 v25, v105                                    // 0000000093E4: 7E320369
	ds_write_b128 v12, v[22:25] offset:1056                    // 0000000093E8: D9BE0420 0000160C
	v_mov_b32_e32 v22, v106                                    // 0000000093F0: 7E2C036A
	v_mov_b32_e32 v23, v107                                    // 0000000093F4: 7E2E036B
	v_mov_b32_e32 v24, v108                                    // 0000000093F8: 7E30036C
	v_mov_b32_e32 v25, v109                                    // 0000000093FC: 7E32036D
	ds_write_b128 v12, v[22:25] offset:2112                    // 000000009400: D9BE0840 0000160C
	v_mov_b32_e32 v22, v110                                    // 000000009408: 7E2C036E
	v_mov_b32_e32 v23, v111                                    // 00000000940C: 7E2E036F
	v_mov_b32_e32 v24, v112                                    // 000000009410: 7E300370
	v_mov_b32_e32 v25, v113                                    // 000000009414: 7E320371
	ds_write_b128 v12, v[22:25] offset:3168                    // 000000009418: D9BE0C60 0000160C
	v_mov_b32_e32 v22, v114                                    // 000000009420: 7E2C0372
	v_mov_b32_e32 v23, v115                                    // 000000009424: 7E2E0373
	v_mov_b32_e32 v24, v116                                    // 000000009428: 7E300374
	v_mov_b32_e32 v25, v117                                    // 00000000942C: 7E320375
	ds_write_b128 v12, v[22:25] offset:4224                    // 000000009430: D9BE1080 0000160C
	v_mov_b32_e32 v22, v118                                    // 000000009438: 7E2C0376
	v_mov_b32_e32 v23, v119                                    // 00000000943C: 7E2E0377
	v_mov_b32_e32 v24, v120                                    // 000000009440: 7E300378
	v_mov_b32_e32 v25, v121                                    // 000000009444: 7E320379
	ds_write_b128 v12, v[22:25] offset:5280                    // 000000009448: D9BE14A0 0000160C
	v_mov_b32_e32 v22, v122                                    // 000000009450: 7E2C037A
	v_mov_b32_e32 v23, v123                                    // 000000009454: 7E2E037B
	v_mov_b32_e32 v24, v124                                    // 000000009458: 7E30037C
	v_mov_b32_e32 v25, v125                                    // 00000000945C: 7E32037D
	ds_write_b128 v12, v[22:25] offset:6336                    // 000000009460: D9BE18C0 0000160C
	v_mov_b32_e32 v22, v126                                    // 000000009468: 7E2C037E
	v_mov_b32_e32 v23, v127                                    // 00000000946C: 7E2E037F
	v_mov_b32_e32 v24, v128                                    // 000000009470: 7E300380
	v_mov_b32_e32 v25, v129                                    // 000000009474: 7E320381
	ds_write_b128 v12, v[22:25] offset:7392                    // 000000009478: D9BE1CE0 0000160C
	s_waitcnt lgkmcnt(4)                                       // 000000009480: BF8CC47F
	ds_read_b128 v[34:37], v3                                  // 000000009484: D9FE0000 22000003
	ds_read_b128 v[38:41], v3 offset:32                        // 00000000948C: D9FE0020 26000003
	ds_read_b128 v[42:45], v3 offset:64                        // 000000009494: D9FE0040 2A000003
	ds_read_b128 v[46:49], v3 offset:96                        // 00000000949C: D9FE0060 2E000003
	s_waitcnt lgkmcnt(4)                                       // 0000000094A4: BF8CC47F
	ds_read_b128 v[50:53], v3 offset:128                       // 0000000094A8: D9FE0080 32000003
	ds_read_b128 v[54:57], v3 offset:160                       // 0000000094B0: D9FE00A0 36000003
	ds_read_b128 v[58:61], v3 offset:192                       // 0000000094B8: D9FE00C0 3A000003
	ds_read_b128 v[62:65], v3 offset:224                       // 0000000094C0: D9FE00E0 3E000003
	s_waitcnt lgkmcnt(0)                                       // 0000000094C8: BF8CC07F
	v_mov_b32_e32 v5, v2                                       // 0000000094CC: 7E0A0302
	buffer_store_dwordx4 v[34:37], v5, s[8:11], 0 offen offset:1024// 0000000094D0: E07C1400 80022205
	v_add_u32_e32 v5, 0x1000, v5                               // 0000000094D8: 680A0AFF 00001000
	buffer_store_dwordx4 v[38:41], v5, s[8:11], 0 offen offset:1024// 0000000094E0: E07C1400 80022605
	v_add_u32_e32 v5, 0x1000, v5                               // 0000000094E8: 680A0AFF 00001000
	buffer_store_dwordx4 v[42:45], v5, s[8:11], 0 offen offset:1024// 0000000094F0: E07C1400 80022A05
	v_add_u32_e32 v5, 0x1000, v5                               // 0000000094F8: 680A0AFF 00001000
	buffer_store_dwordx4 v[46:49], v5, s[8:11], 0 offen offset:1024// 000000009500: E07C1400 80022E05
	v_add_u32_e32 v5, 0x1000, v5                               // 000000009508: 680A0AFF 00001000
	buffer_store_dwordx4 v[50:53], v5, s[8:11], 0 offen offset:1024// 000000009510: E07C1400 80023205
	v_add_u32_e32 v5, 0x1000, v5                               // 000000009518: 680A0AFF 00001000
	buffer_store_dwordx4 v[54:57], v5, s[8:11], 0 offen offset:1024// 000000009520: E07C1400 80023605
	v_add_u32_e32 v5, 0x1000, v5                               // 000000009528: 680A0AFF 00001000
	buffer_store_dwordx4 v[58:61], v5, s[8:11], 0 offen offset:1024// 000000009530: E07C1400 80023A05
	v_add_u32_e32 v5, 0x1000, v5                               // 000000009538: 680A0AFF 00001000
	buffer_store_dwordx4 v[62:65], v5, s[8:11], 0 offen offset:1024// 000000009540: E07C1400 80023E05
	v_add_u32_e32 v5, 0x1000, v5                               // 000000009548: 680A0AFF 00001000
	v_mov_b32_e32 v22, v130                                    // 000000009550: 7E2C0382
	v_mov_b32_e32 v23, v131                                    // 000000009554: 7E2E0383
	v_mov_b32_e32 v24, v132                                    // 000000009558: 7E300384
	v_mov_b32_e32 v25, v133                                    // 00000000955C: 7E320385
	ds_write_b128 v12, v[22:25]                                // 000000009560: D9BE0000 0000160C
	v_mov_b32_e32 v22, v134                                    // 000000009568: 7E2C0386
	v_mov_b32_e32 v23, v135                                    // 00000000956C: 7E2E0387
	v_mov_b32_e32 v24, v136                                    // 000000009570: 7E300388
	v_mov_b32_e32 v25, v137                                    // 000000009574: 7E320389
	ds_write_b128 v12, v[22:25] offset:1056                    // 000000009578: D9BE0420 0000160C
	v_mov_b32_e32 v22, v138                                    // 000000009580: 7E2C038A
	v_mov_b32_e32 v23, v139                                    // 000000009584: 7E2E038B
	v_mov_b32_e32 v24, v140                                    // 000000009588: 7E30038C
	v_mov_b32_e32 v25, v141                                    // 00000000958C: 7E32038D
	ds_write_b128 v12, v[22:25] offset:2112                    // 000000009590: D9BE0840 0000160C
	v_mov_b32_e32 v22, v142                                    // 000000009598: 7E2C038E
	v_mov_b32_e32 v23, v143                                    // 00000000959C: 7E2E038F
	v_mov_b32_e32 v24, v144                                    // 0000000095A0: 7E300390
	v_mov_b32_e32 v25, v145                                    // 0000000095A4: 7E320391
	ds_write_b128 v12, v[22:25] offset:3168                    // 0000000095A8: D9BE0C60 0000160C
	v_mov_b32_e32 v22, v146                                    // 0000000095B0: 7E2C0392
	v_mov_b32_e32 v23, v147                                    // 0000000095B4: 7E2E0393
	v_mov_b32_e32 v24, v148                                    // 0000000095B8: 7E300394
	v_mov_b32_e32 v25, v149                                    // 0000000095BC: 7E320395
	ds_write_b128 v12, v[22:25] offset:4224                    // 0000000095C0: D9BE1080 0000160C
	v_mov_b32_e32 v22, v150                                    // 0000000095C8: 7E2C0396
	v_mov_b32_e32 v23, v151                                    // 0000000095CC: 7E2E0397
	v_mov_b32_e32 v24, v152                                    // 0000000095D0: 7E300398
	v_mov_b32_e32 v25, v153                                    // 0000000095D4: 7E320399
	ds_write_b128 v12, v[22:25] offset:5280                    // 0000000095D8: D9BE14A0 0000160C
	v_mov_b32_e32 v22, v154                                    // 0000000095E0: 7E2C039A
	v_mov_b32_e32 v23, v155                                    // 0000000095E4: 7E2E039B
	v_mov_b32_e32 v24, v156                                    // 0000000095E8: 7E30039C
	v_mov_b32_e32 v25, v157                                    // 0000000095EC: 7E32039D
	ds_write_b128 v12, v[22:25] offset:6336                    // 0000000095F0: D9BE18C0 0000160C
	v_mov_b32_e32 v22, v158                                    // 0000000095F8: 7E2C039E
	v_mov_b32_e32 v23, v159                                    // 0000000095FC: 7E2E039F
	v_mov_b32_e32 v24, v160                                    // 000000009600: 7E3003A0
	v_mov_b32_e32 v25, v161                                    // 000000009604: 7E3203A1
	ds_write_b128 v12, v[22:25] offset:7392                    // 000000009608: D9BE1CE0 0000160C
	s_waitcnt lgkmcnt(4)                                       // 000000009610: BF8CC47F
	ds_read_b128 v[34:37], v3                                  // 000000009614: D9FE0000 22000003
	ds_read_b128 v[38:41], v3 offset:32                        // 00000000961C: D9FE0020 26000003
	ds_read_b128 v[42:45], v3 offset:64                        // 000000009624: D9FE0040 2A000003
	ds_read_b128 v[46:49], v3 offset:96                        // 00000000962C: D9FE0060 2E000003
	s_waitcnt lgkmcnt(4)                                       // 000000009634: BF8CC47F
	ds_read_b128 v[50:53], v3 offset:128                       // 000000009638: D9FE0080 32000003
	ds_read_b128 v[54:57], v3 offset:160                       // 000000009640: D9FE00A0 36000003
	ds_read_b128 v[58:61], v3 offset:192                       // 000000009648: D9FE00C0 3A000003
	ds_read_b128 v[62:65], v3 offset:224                       // 000000009650: D9FE00E0 3E000003
	s_waitcnt lgkmcnt(0)                                       // 000000009658: BF8CC07F
	v_mov_b32_e32 v5, v2                                       // 00000000965C: 7E0A0302
	buffer_store_dwordx4 v[34:37], v5, s[8:11], 0 offen offset:1536// 000000009660: E07C1600 80022205
	v_add_u32_e32 v5, 0x1000, v5                               // 000000009668: 680A0AFF 00001000
	buffer_store_dwordx4 v[38:41], v5, s[8:11], 0 offen offset:1536// 000000009670: E07C1600 80022605
	v_add_u32_e32 v5, 0x1000, v5                               // 000000009678: 680A0AFF 00001000
	buffer_store_dwordx4 v[42:45], v5, s[8:11], 0 offen offset:1536// 000000009680: E07C1600 80022A05
	v_add_u32_e32 v5, 0x1000, v5                               // 000000009688: 680A0AFF 00001000
	buffer_store_dwordx4 v[46:49], v5, s[8:11], 0 offen offset:1536// 000000009690: E07C1600 80022E05
	v_add_u32_e32 v5, 0x1000, v5                               // 000000009698: 680A0AFF 00001000
	buffer_store_dwordx4 v[50:53], v5, s[8:11], 0 offen offset:1536// 0000000096A0: E07C1600 80023205
	v_add_u32_e32 v5, 0x1000, v5                               // 0000000096A8: 680A0AFF 00001000
	buffer_store_dwordx4 v[54:57], v5, s[8:11], 0 offen offset:1536// 0000000096B0: E07C1600 80023605
	v_add_u32_e32 v5, 0x1000, v5                               // 0000000096B8: 680A0AFF 00001000
	buffer_store_dwordx4 v[58:61], v5, s[8:11], 0 offen offset:1536// 0000000096C0: E07C1600 80023A05
	v_add_u32_e32 v5, 0x1000, v5                               // 0000000096C8: 680A0AFF 00001000
	buffer_store_dwordx4 v[62:65], v5, s[8:11], 0 offen offset:1536// 0000000096D0: E07C1600 80023E05
	v_add_u32_e32 v5, 0x1000, v5                               // 0000000096D8: 680A0AFF 00001000
	buffer_store_dword v1, v4, s[12:15], 0 offen               // 0000000096E0: E0701000 80030104
	s_branch label_7C84                                        // 0000000096E8: BF8201E4

00000000000096ec <label_74F4>:
	s_mov_b32 s75, 0x4000                                      // 0000000096EC: BECB00FF 00004000
	s_mul_i32 s56, s75, s78                                    // 0000000096F4: 92384E4B
	s_add_u32 s88, s56, s88                                    // 0000000096F8: 80585838
	s_addc_u32 s89, 0, s89                                     // 0000000096FC: 82595980
	s_mul_i32 s56, s75, s81                                    // 000000009700: 9238514B
	s_mov_b32 s90, s56                                         // 000000009704: BEDA0038
	s_mul_i32 s56, 0x100, s7                                   // 000000009708: 923807FF 00000100
	v_lshrrev_b32_e32 v22, 5, v0                               // 000000009710: 202C0085
	s_mov_b32 s57, 0x400                                       // 000000009714: BEB900FF 00000400
	v_mul_i32_i24_e32 v22, s57, v22                            // 00000000971C: 0C2C2C39
	v_and_b32_e32 v5, 31, v0                                   // 000000009720: 260A009F
	v_lshlrev_b32_e32 v5, 4, v5                                // 000000009724: 240A0A84
	v_add_u32_e32 v5, v5, v22                                  // 000000009728: 680A2D05
	v_add_u32_e64 v5, v5, s56                                  // 00000000972C: D1340005 00007105
	s_mul_i32 s57, 4, 16                                       // 000000009734: 92399084
	s_mul_i32 s56, s78, s57                                    // 000000009738: 9238394E
	s_add_u32 s92, s56, s92                                    // 00000000973C: 805C5C38
	s_addc_u32 s93, 0, s93                                     // 000000009740: 825D5D80
	v_and_b32_e32 v4, 15, v0                                   // 000000009744: 2608008F
	v_lshlrev_b32_e32 v4, 2, v4                                // 000000009748: 24080882
	s_mul_i32 s56, s57, s7                                     // 00000000974C: 92380739
	v_add_u32_e64 v4, v4, s56                                  // 000000009750: D1340004 00007104
	v_lshlrev_b32_e32 v2, 3, v0                                // 000000009758: 24040083
	s_mov_b32 s56, 0x5000                                      // 00000000975C: BEB800FF 00005000
	s_mul_i32 s56, s7, s56                                     // 000000009764: 92383807
	v_add_u32_e32 v2, s56, v2                                  // 000000009768: 68040438
	v_cvt_pk_bf16_f32 v34, v34, v35                            // 00000000976C: D2680022 00024722
	v_cvt_pk_bf16_f32 v35, v36, v37                            // 000000009774: D2680023 00024B24
	v_cvt_pk_bf16_f32 v36, v38, v39                            // 00000000977C: D2680024 00024F26
	v_cvt_pk_bf16_f32 v37, v40, v41                            // 000000009784: D2680025 00025328
	v_cvt_pk_bf16_f32 v38, v42, v43                            // 00000000978C: D2680026 0002572A
	v_cvt_pk_bf16_f32 v39, v44, v45                            // 000000009794: D2680027 00025B2C
	v_cvt_pk_bf16_f32 v40, v46, v47                            // 00000000979C: D2680028 00025F2E
	v_cvt_pk_bf16_f32 v41, v48, v49                            // 0000000097A4: D2680029 00026330
	v_cvt_pk_bf16_f32 v42, v50, v51                            // 0000000097AC: D268002A 00026732
	v_cvt_pk_bf16_f32 v43, v52, v53                            // 0000000097B4: D268002B 00026B34
	v_cvt_pk_bf16_f32 v44, v54, v55                            // 0000000097BC: D268002C 00026F36
	v_cvt_pk_bf16_f32 v45, v56, v57                            // 0000000097C4: D268002D 00027338
	v_cvt_pk_bf16_f32 v46, v58, v59                            // 0000000097CC: D268002E 0002773A
	v_cvt_pk_bf16_f32 v47, v60, v61                            // 0000000097D4: D268002F 00027B3C
	v_cvt_pk_bf16_f32 v48, v62, v63                            // 0000000097DC: D2680030 00027F3E
	v_cvt_pk_bf16_f32 v49, v64, v65                            // 0000000097E4: D2680031 00028340
	ds_write_b64 v2, v[34:35]                                  // 0000000097EC: D89A0000 00002202
	s_mov_b32 s56, 0x208                                       // 0000000097F4: BEB800FF 00000208
	v_add_u32_e32 v2, s56, v2                                  // 0000000097FC: 68040438
	ds_write_b64 v2, v[36:37]                                  // 000000009800: D89A0000 00002402
	s_mov_b32 s56, 0x208                                       // 000000009808: BEB800FF 00000208
	v_add_u32_e32 v2, s56, v2                                  // 000000009810: 68040438
	ds_write_b64 v2, v[38:39]                                  // 000000009814: D89A0000 00002602
	s_mov_b32 s56, 0x208                                       // 00000000981C: BEB800FF 00000208
	v_add_u32_e32 v2, s56, v2                                  // 000000009824: 68040438
	ds_write_b64 v2, v[40:41]                                  // 000000009828: D89A0000 00002802
	s_mov_b32 s56, 0x208                                       // 000000009830: BEB800FF 00000208
	v_add_u32_e32 v2, s56, v2                                  // 000000009838: 68040438
	ds_write_b64 v2, v[42:43]                                  // 00000000983C: D89A0000 00002A02
	s_mov_b32 s56, 0x208                                       // 000000009844: BEB800FF 00000208
	v_add_u32_e32 v2, s56, v2                                  // 00000000984C: 68040438
	ds_write_b64 v2, v[44:45]                                  // 000000009850: D89A0000 00002C02
	s_mov_b32 s56, 0x208                                       // 000000009858: BEB800FF 00000208
	v_add_u32_e32 v2, s56, v2                                  // 000000009860: 68040438
	ds_write_b64 v2, v[46:47]                                  // 000000009864: D89A0000 00002E02
	s_mov_b32 s56, 0x208                                       // 00000000986C: BEB800FF 00000208
	v_add_u32_e32 v2, s56, v2                                  // 000000009874: 68040438
	ds_write_b64 v2, v[48:49]                                  // 000000009878: D89A0000 00003002
	s_mov_b32 s56, 0x208                                       // 000000009880: BEB800FF 00000208
	v_add_u32_e32 v2, s56, v2                                  // 000000009888: 68040438
	v_cvt_pk_bf16_f32 v34, v66, v67                            // 00000000988C: D2680022 00028742
	v_cvt_pk_bf16_f32 v35, v68, v69                            // 000000009894: D2680023 00028B44
	v_cvt_pk_bf16_f32 v36, v70, v71                            // 00000000989C: D2680024 00028F46
	v_cvt_pk_bf16_f32 v37, v72, v73                            // 0000000098A4: D2680025 00029348
	v_cvt_pk_bf16_f32 v38, v74, v75                            // 0000000098AC: D2680026 0002974A
	v_cvt_pk_bf16_f32 v39, v76, v77                            // 0000000098B4: D2680027 00029B4C
	v_cvt_pk_bf16_f32 v40, v78, v79                            // 0000000098BC: D2680028 00029F4E
	v_cvt_pk_bf16_f32 v41, v80, v81                            // 0000000098C4: D2680029 0002A350
	v_cvt_pk_bf16_f32 v42, v82, v83                            // 0000000098CC: D268002A 0002A752
	v_cvt_pk_bf16_f32 v43, v84, v85                            // 0000000098D4: D268002B 0002AB54
	v_cvt_pk_bf16_f32 v44, v86, v87                            // 0000000098DC: D268002C 0002AF56
	v_cvt_pk_bf16_f32 v45, v88, v89                            // 0000000098E4: D268002D 0002B358
	v_cvt_pk_bf16_f32 v46, v90, v91                            // 0000000098EC: D268002E 0002B75A
	v_cvt_pk_bf16_f32 v47, v92, v93                            // 0000000098F4: D268002F 0002BB5C
	v_cvt_pk_bf16_f32 v48, v94, v95                            // 0000000098FC: D2680030 0002BF5E
	v_cvt_pk_bf16_f32 v49, v96, v97                            // 000000009904: D2680031 0002C360
	ds_write_b64 v2, v[34:35]                                  // 00000000990C: D89A0000 00002202
	s_mov_b32 s56, 0x208                                       // 000000009914: BEB800FF 00000208
	v_add_u32_e32 v2, s56, v2                                  // 00000000991C: 68040438
	ds_write_b64 v2, v[36:37]                                  // 000000009920: D89A0000 00002402
	s_mov_b32 s56, 0x208                                       // 000000009928: BEB800FF 00000208
	v_add_u32_e32 v2, s56, v2                                  // 000000009930: 68040438
	ds_write_b64 v2, v[38:39]                                  // 000000009934: D89A0000 00002602
	s_mov_b32 s56, 0x208                                       // 00000000993C: BEB800FF 00000208
	v_add_u32_e32 v2, s56, v2                                  // 000000009944: 68040438
	ds_write_b64 v2, v[40:41]                                  // 000000009948: D89A0000 00002802
	s_mov_b32 s56, 0x208                                       // 000000009950: BEB800FF 00000208
	v_add_u32_e32 v2, s56, v2                                  // 000000009958: 68040438
	ds_write_b64 v2, v[42:43]                                  // 00000000995C: D89A0000 00002A02
	s_mov_b32 s56, 0x208                                       // 000000009964: BEB800FF 00000208
	v_add_u32_e32 v2, s56, v2                                  // 00000000996C: 68040438
	ds_write_b64 v2, v[44:45]                                  // 000000009970: D89A0000 00002C02
	s_mov_b32 s56, 0x208                                       // 000000009978: BEB800FF 00000208
	v_add_u32_e32 v2, s56, v2                                  // 000000009980: 68040438
	ds_write_b64 v2, v[46:47]                                  // 000000009984: D89A0000 00002E02
	s_mov_b32 s56, 0x208                                       // 00000000998C: BEB800FF 00000208
	v_add_u32_e32 v2, s56, v2                                  // 000000009994: 68040438
	ds_write_b64 v2, v[48:49]                                  // 000000009998: D89A0000 00003002
	s_mov_b32 s56, 0x208                                       // 0000000099A0: BEB800FF 00000208
	v_add_u32_e32 v2, s56, v2                                  // 0000000099A8: 68040438
	v_cvt_pk_bf16_f32 v34, v98, v99                            // 0000000099AC: D2680022 0002C762
	v_cvt_pk_bf16_f32 v35, v100, v101                          // 0000000099B4: D2680023 0002CB64
	v_cvt_pk_bf16_f32 v36, v102, v103                          // 0000000099BC: D2680024 0002CF66
	v_cvt_pk_bf16_f32 v37, v104, v105                          // 0000000099C4: D2680025 0002D368
	v_cvt_pk_bf16_f32 v38, v106, v107                          // 0000000099CC: D2680026 0002D76A
	v_cvt_pk_bf16_f32 v39, v108, v109                          // 0000000099D4: D2680027 0002DB6C
	v_cvt_pk_bf16_f32 v40, v110, v111                          // 0000000099DC: D2680028 0002DF6E
	v_cvt_pk_bf16_f32 v41, v112, v113                          // 0000000099E4: D2680029 0002E370
	v_cvt_pk_bf16_f32 v42, v114, v115                          // 0000000099EC: D268002A 0002E772
	v_cvt_pk_bf16_f32 v43, v116, v117                          // 0000000099F4: D268002B 0002EB74
	v_cvt_pk_bf16_f32 v44, v118, v119                          // 0000000099FC: D268002C 0002EF76
	v_cvt_pk_bf16_f32 v45, v120, v121                          // 000000009A04: D268002D 0002F378
	v_cvt_pk_bf16_f32 v46, v122, v123                          // 000000009A0C: D268002E 0002F77A
	v_cvt_pk_bf16_f32 v47, v124, v125                          // 000000009A14: D268002F 0002FB7C
	v_cvt_pk_bf16_f32 v48, v126, v127                          // 000000009A1C: D2680030 0002FF7E
	v_cvt_pk_bf16_f32 v49, v128, v129                          // 000000009A24: D2680031 00030380
	ds_write_b64 v2, v[34:35]                                  // 000000009A2C: D89A0000 00002202
	s_mov_b32 s56, 0x208                                       // 000000009A34: BEB800FF 00000208
	v_add_u32_e32 v2, s56, v2                                  // 000000009A3C: 68040438
	ds_write_b64 v2, v[36:37]                                  // 000000009A40: D89A0000 00002402
	s_mov_b32 s56, 0x208                                       // 000000009A48: BEB800FF 00000208
	v_add_u32_e32 v2, s56, v2                                  // 000000009A50: 68040438
	ds_write_b64 v2, v[38:39]                                  // 000000009A54: D89A0000 00002602
	s_mov_b32 s56, 0x208                                       // 000000009A5C: BEB800FF 00000208
	v_add_u32_e32 v2, s56, v2                                  // 000000009A64: 68040438
	ds_write_b64 v2, v[40:41]                                  // 000000009A68: D89A0000 00002802
	s_mov_b32 s56, 0x208                                       // 000000009A70: BEB800FF 00000208
	v_add_u32_e32 v2, s56, v2                                  // 000000009A78: 68040438
	ds_write_b64 v2, v[42:43]                                  // 000000009A7C: D89A0000 00002A02
	s_mov_b32 s56, 0x208                                       // 000000009A84: BEB800FF 00000208
	v_add_u32_e32 v2, s56, v2                                  // 000000009A8C: 68040438
	ds_write_b64 v2, v[44:45]                                  // 000000009A90: D89A0000 00002C02
	s_mov_b32 s56, 0x208                                       // 000000009A98: BEB800FF 00000208
	v_add_u32_e32 v2, s56, v2                                  // 000000009AA0: 68040438
	ds_write_b64 v2, v[46:47]                                  // 000000009AA4: D89A0000 00002E02
	s_mov_b32 s56, 0x208                                       // 000000009AAC: BEB800FF 00000208
	v_add_u32_e32 v2, s56, v2                                  // 000000009AB4: 68040438
	ds_write_b64 v2, v[48:49]                                  // 000000009AB8: D89A0000 00003002
	s_mov_b32 s56, 0x208                                       // 000000009AC0: BEB800FF 00000208
	v_add_u32_e32 v2, s56, v2                                  // 000000009AC8: 68040438
	v_cvt_pk_bf16_f32 v34, v130, v131                          // 000000009ACC: D2680022 00030782
	v_cvt_pk_bf16_f32 v35, v132, v133                          // 000000009AD4: D2680023 00030B84
	v_cvt_pk_bf16_f32 v36, v134, v135                          // 000000009ADC: D2680024 00030F86
	v_cvt_pk_bf16_f32 v37, v136, v137                          // 000000009AE4: D2680025 00031388
	v_cvt_pk_bf16_f32 v38, v138, v139                          // 000000009AEC: D2680026 0003178A
	v_cvt_pk_bf16_f32 v39, v140, v141                          // 000000009AF4: D2680027 00031B8C
	v_cvt_pk_bf16_f32 v40, v142, v143                          // 000000009AFC: D2680028 00031F8E
	v_cvt_pk_bf16_f32 v41, v144, v145                          // 000000009B04: D2680029 00032390
	v_cvt_pk_bf16_f32 v42, v146, v147                          // 000000009B0C: D268002A 00032792
	v_cvt_pk_bf16_f32 v43, v148, v149                          // 000000009B14: D268002B 00032B94
	v_cvt_pk_bf16_f32 v44, v150, v151                          // 000000009B1C: D268002C 00032F96
	v_cvt_pk_bf16_f32 v45, v152, v153                          // 000000009B24: D268002D 00033398
	v_cvt_pk_bf16_f32 v46, v154, v155                          // 000000009B2C: D268002E 0003379A
	v_cvt_pk_bf16_f32 v47, v156, v157                          // 000000009B34: D268002F 00033B9C
	v_cvt_pk_bf16_f32 v48, v158, v159                          // 000000009B3C: D2680030 00033F9E
	v_cvt_pk_bf16_f32 v49, v160, v161                          // 000000009B44: D2680031 000343A0
	ds_write_b64 v2, v[34:35]                                  // 000000009B4C: D89A0000 00002202
	s_mov_b32 s56, 0x208                                       // 000000009B54: BEB800FF 00000208
	v_add_u32_e32 v2, s56, v2                                  // 000000009B5C: 68040438
	ds_write_b64 v2, v[36:37]                                  // 000000009B60: D89A0000 00002402
	s_mov_b32 s56, 0x208                                       // 000000009B68: BEB800FF 00000208
	v_add_u32_e32 v2, s56, v2                                  // 000000009B70: 68040438
	ds_write_b64 v2, v[38:39]                                  // 000000009B74: D89A0000 00002602
	s_mov_b32 s56, 0x208                                       // 000000009B7C: BEB800FF 00000208
	v_add_u32_e32 v2, s56, v2                                  // 000000009B84: 68040438
	ds_write_b64 v2, v[40:41]                                  // 000000009B88: D89A0000 00002802
	s_mov_b32 s56, 0x208                                       // 000000009B90: BEB800FF 00000208
	v_add_u32_e32 v2, s56, v2                                  // 000000009B98: 68040438
	ds_write_b64 v2, v[42:43]                                  // 000000009B9C: D89A0000 00002A02
	s_mov_b32 s56, 0x208                                       // 000000009BA4: BEB800FF 00000208
	v_add_u32_e32 v2, s56, v2                                  // 000000009BAC: 68040438
	ds_write_b64 v2, v[44:45]                                  // 000000009BB0: D89A0000 00002C02
	s_mov_b32 s56, 0x208                                       // 000000009BB8: BEB800FF 00000208
	v_add_u32_e32 v2, s56, v2                                  // 000000009BC0: 68040438
	ds_write_b64 v2, v[46:47]                                  // 000000009BC4: D89A0000 00002E02
	s_mov_b32 s56, 0x208                                       // 000000009BCC: BEB800FF 00000208
	v_add_u32_e32 v2, s56, v2                                  // 000000009BD4: 68040438
	ds_write_b64 v2, v[48:49]                                  // 000000009BD8: D89A0000 00003002
	s_mov_b32 s56, 0x208                                       // 000000009BE0: BEB800FF 00000208
	v_add_u32_e32 v2, s56, v2                                  // 000000009BE8: 68040438
	s_mov_b32 s56, 0x100                                       // 000000009BEC: BEB800FF 00000100
	v_mul_i32_i24_e32 v2, s56, v0                              // 000000009BF4: 0C040038
	v_lshrrev_b32_e32 v22, 1, v0                               // 000000009BF8: 202C0081
	v_lshlrev_b32_e32 v22, 3, v22                              // 000000009BFC: 242C2C83
	v_add_u32_e32 v2, v2, v22                                  // 000000009C00: 68042D02
	s_mov_b32 s57, 0x80                                        // 000000009C04: BEB900FF 00000080
	v_add_u32_e32 v3, s57, v2                                  // 000000009C0C: 68060439
	s_mov_b32 s57, 0x5000                                      // 000000009C10: BEB900FF 00005000
	s_mul_i32 s56, s57, s7                                     // 000000009C18: 92380739
	v_add_u32_e32 v2, s56, v2                                  // 000000009C1C: 68040438
	v_add_u32_e32 v3, s56, v3                                  // 000000009C20: 68060638
	s_mul_i32 s56, s75, s7                                     // 000000009C24: 9238074B
	v_lshlrev_b32_e32 v5, 4, v0                                // 000000009C28: 240A0084
	v_add_u32_e32 v5, s56, v5                                  // 000000009C2C: 680A0A38
	s_waitcnt lgkmcnt(0)                                       // 000000009C30: BF8CC07F
	ds_read_b64 v[34:35], v2                                   // 000000009C34: D8EC0000 22000002
	ds_read_b64 v[36:37], v3                                   // 000000009C3C: D8EC0000 24000003
	ds_read_b64 v[38:39], v2 offset:8                          // 000000009C44: D8EC0008 26000002
	ds_read_b64 v[40:41], v3 offset:8                          // 000000009C4C: D8EC0008 28000003
	s_waitcnt lgkmcnt(2)                                       // 000000009C54: BF8CC27F
	buffer_store_dwordx4 v[34:37], v5, s[88:91], 0 offen       // 000000009C58: E07C1000 80162205
	v_add_u32_e32 v5, 0x400, v5                                // 000000009C60: 680A0AFF 00000400
	ds_read_b64 v[42:43], v2 offset:16                         // 000000009C68: D8EC0010 2A000002
	ds_read_b64 v[44:45], v3 offset:16                         // 000000009C70: D8EC0010 2C000003
	s_waitcnt lgkmcnt(2)                                       // 000000009C78: BF8CC27F
	buffer_store_dwordx4 v[38:41], v5, s[88:91], 0 offen       // 000000009C7C: E07C1000 80162605
	v_add_u32_e32 v5, 0x400, v5                                // 000000009C84: 680A0AFF 00000400
	ds_read_b64 v[46:47], v2 offset:24                         // 000000009C8C: D8EC0018 2E000002
	ds_read_b64 v[48:49], v3 offset:24                         // 000000009C94: D8EC0018 30000003
	s_waitcnt lgkmcnt(2)                                       // 000000009C9C: BF8CC27F
	buffer_store_dwordx4 v[42:45], v5, s[88:91], 0 offen       // 000000009CA0: E07C1000 80162A05
	v_add_u32_e32 v5, 0x400, v5                                // 000000009CA8: 680A0AFF 00000400
	s_waitcnt lgkmcnt(0)                                       // 000000009CB0: BF8CC07F
	buffer_store_dwordx4 v[46:49], v5, s[88:91], 0 offen       // 000000009CB4: E07C1000 80162E05
	v_add_u32_e32 v5, 0x400, v5                                // 000000009CBC: 680A0AFF 00000400
	ds_read_b64 v[50:51], v2 offset:32                         // 000000009CC4: D8EC0020 32000002
	ds_read_b64 v[52:53], v3 offset:32                         // 000000009CCC: D8EC0020 34000003
	ds_read_b64 v[54:55], v2 offset:40                         // 000000009CD4: D8EC0028 36000002
	ds_read_b64 v[56:57], v3 offset:40                         // 000000009CDC: D8EC0028 38000003
	s_waitcnt lgkmcnt(2)                                       // 000000009CE4: BF8CC27F
	buffer_store_dwordx4 v[50:53], v5, s[88:91], 0 offen       // 000000009CE8: E07C1000 80163205
	v_add_u32_e32 v5, 0x400, v5                                // 000000009CF0: 680A0AFF 00000400
	ds_read_b64 v[58:59], v2 offset:48                         // 000000009CF8: D8EC0030 3A000002
	ds_read_b64 v[60:61], v3 offset:48                         // 000000009D00: D8EC0030 3C000003
	s_waitcnt lgkmcnt(2)                                       // 000000009D08: BF8CC27F
	buffer_store_dwordx4 v[54:57], v5, s[88:91], 0 offen       // 000000009D0C: E07C1000 80163605
	v_add_u32_e32 v5, 0x400, v5                                // 000000009D14: 680A0AFF 00000400
	ds_read_b64 v[62:63], v2 offset:56                         // 000000009D1C: D8EC0038 3E000002
	ds_read_b64 v[64:65], v3 offset:56                         // 000000009D24: D8EC0038 40000003
	s_waitcnt lgkmcnt(2)                                       // 000000009D2C: BF8CC27F
	buffer_store_dwordx4 v[58:61], v5, s[88:91], 0 offen       // 000000009D30: E07C1000 80163A05
	v_add_u32_e32 v5, 0x400, v5                                // 000000009D38: 680A0AFF 00000400
	s_waitcnt lgkmcnt(0)                                       // 000000009D40: BF8CC07F
	buffer_store_dwordx4 v[62:65], v5, s[88:91], 0 offen       // 000000009D44: E07C1000 80163E05
	v_add_u32_e32 v5, 0x400, v5                                // 000000009D4C: 680A0AFF 00000400
	ds_read_b64 v[66:67], v2 offset:64                         // 000000009D54: D8EC0040 42000002
	ds_read_b64 v[68:69], v3 offset:64                         // 000000009D5C: D8EC0040 44000003
	ds_read_b64 v[70:71], v2 offset:72                         // 000000009D64: D8EC0048 46000002
	ds_read_b64 v[72:73], v3 offset:72                         // 000000009D6C: D8EC0048 48000003
	s_waitcnt lgkmcnt(2)                                       // 000000009D74: BF8CC27F
	buffer_store_dwordx4 v[66:69], v5, s[88:91], 0 offen       // 000000009D78: E07C1000 80164205
	v_add_u32_e32 v5, 0x400, v5                                // 000000009D80: 680A0AFF 00000400
	ds_read_b64 v[74:75], v2 offset:80                         // 000000009D88: D8EC0050 4A000002
	ds_read_b64 v[76:77], v3 offset:80                         // 000000009D90: D8EC0050 4C000003
	s_waitcnt lgkmcnt(2)                                       // 000000009D98: BF8CC27F
	buffer_store_dwordx4 v[70:73], v5, s[88:91], 0 offen       // 000000009D9C: E07C1000 80164605
	v_add_u32_e32 v5, 0x400, v5                                // 000000009DA4: 680A0AFF 00000400
	ds_read_b64 v[78:79], v2 offset:88                         // 000000009DAC: D8EC0058 4E000002
	ds_read_b64 v[80:81], v3 offset:88                         // 000000009DB4: D8EC0058 50000003
	s_waitcnt lgkmcnt(2)                                       // 000000009DBC: BF8CC27F
	buffer_store_dwordx4 v[74:77], v5, s[88:91], 0 offen       // 000000009DC0: E07C1000 80164A05
	v_add_u32_e32 v5, 0x400, v5                                // 000000009DC8: 680A0AFF 00000400
	s_waitcnt lgkmcnt(0)                                       // 000000009DD0: BF8CC07F
	buffer_store_dwordx4 v[78:81], v5, s[88:91], 0 offen       // 000000009DD4: E07C1000 80164E05
	v_add_u32_e32 v5, 0x400, v5                                // 000000009DDC: 680A0AFF 00000400
	ds_read_b64 v[82:83], v2 offset:96                         // 000000009DE4: D8EC0060 52000002
	ds_read_b64 v[84:85], v3 offset:96                         // 000000009DEC: D8EC0060 54000003
	ds_read_b64 v[86:87], v2 offset:104                        // 000000009DF4: D8EC0068 56000002
	ds_read_b64 v[88:89], v3 offset:104                        // 000000009DFC: D8EC0068 58000003
	s_waitcnt lgkmcnt(2)                                       // 000000009E04: BF8CC27F
	buffer_store_dwordx4 v[82:85], v5, s[88:91], 0 offen       // 000000009E08: E07C1000 80165205
	v_add_u32_e32 v5, 0x400, v5                                // 000000009E10: 680A0AFF 00000400
	ds_read_b64 v[90:91], v2 offset:112                        // 000000009E18: D8EC0070 5A000002
	ds_read_b64 v[92:93], v3 offset:112                        // 000000009E20: D8EC0070 5C000003
	s_waitcnt lgkmcnt(2)                                       // 000000009E28: BF8CC27F
	buffer_store_dwordx4 v[86:89], v5, s[88:91], 0 offen       // 000000009E2C: E07C1000 80165605
	v_add_u32_e32 v5, 0x400, v5                                // 000000009E34: 680A0AFF 00000400
	ds_read_b64 v[94:95], v2 offset:120                        // 000000009E3C: D8EC0078 5E000002
	ds_read_b64 v[96:97], v3 offset:120                        // 000000009E44: D8EC0078 60000003
	s_waitcnt lgkmcnt(2)                                       // 000000009E4C: BF8CC27F
	buffer_store_dwordx4 v[90:93], v5, s[88:91], 0 offen       // 000000009E50: E07C1000 80165A05
	v_add_u32_e32 v5, 0x400, v5                                // 000000009E58: 680A0AFF 00000400
	s_waitcnt lgkmcnt(0)                                       // 000000009E60: BF8CC07F
	buffer_store_dwordx4 v[94:97], v5, s[88:91], 0 offen       // 000000009E64: E07C1000 80165E05
	v_add_u32_e32 v5, 0x400, v5                                // 000000009E6C: 680A0AFF 00000400
	buffer_store_dword v1, v4, s[92:95], 0 offen               // 000000009E74: E0701000 80170104

0000000000009e7c <label_7C84>:
	s_mov_b32 s56, 32                                          // 000000009E7C: BEB800A0
	s_addk_i32 s85, 0x1                                        // 000000009E80: B7550001
	s_cmp_lt_i32 s85, s86                                      // 000000009E84: BF045655
	s_cbranch_scc1 label_00A4                                  // 000000009E88: BF85E186

0000000000009e8c <label_7C94>:
	s_waitcnt vmcnt(0) expcnt(0) lgkmcnt(0)                    // 000000009E8C: BF8C0000
	s_endpgm                                                   // 000000009E90: BF810000
